;; amdgpu-corpus repo=ROCm/rocFFT kind=compiled arch=gfx1201 opt=O3
	.text
	.amdgcn_target "amdgcn-amd-amdhsa--gfx1201"
	.amdhsa_code_object_version 6
	.protected	bluestein_single_fwd_len1904_dim1_half_op_CI_CI ; -- Begin function bluestein_single_fwd_len1904_dim1_half_op_CI_CI
	.globl	bluestein_single_fwd_len1904_dim1_half_op_CI_CI
	.p2align	8
	.type	bluestein_single_fwd_len1904_dim1_half_op_CI_CI,@function
bluestein_single_fwd_len1904_dim1_half_op_CI_CI: ; @bluestein_single_fwd_len1904_dim1_half_op_CI_CI
; %bb.0:
	s_load_b128 s[4:7], s[0:1], 0x28
	v_mul_u32_u24_e32 v1, 0x227, v0
	s_mov_b32 s2, exec_lo
	v_mov_b32_e32 v250, 0
	s_delay_alu instid0(VALU_DEP_2) | instskip(NEXT) | instid1(VALU_DEP_1)
	v_lshrrev_b32_e32 v1, 16, v1
	v_add_nc_u32_e32 v249, ttmp9, v1
	s_wait_kmcnt 0x0
	s_delay_alu instid0(VALU_DEP_1)
	v_cmpx_gt_u64_e64 s[4:5], v[249:250]
	s_cbranch_execz .LBB0_23
; %bb.1:
	v_mul_lo_u16 v1, 0x77, v1
	s_clause 0x1
	s_load_b64 s[12:13], s[0:1], 0x0
	s_load_b64 s[14:15], s[0:1], 0x38
	s_delay_alu instid0(VALU_DEP_1) | instskip(NEXT) | instid1(VALU_DEP_1)
	v_sub_nc_u16 v0, v0, v1
	v_and_b32_e32 v50, 0xffff, v0
	v_cmp_gt_u16_e32 vcc_lo, 0x70, v0
	s_delay_alu instid0(VALU_DEP_2)
	v_lshlrev_b32_e32 v48, 2, v50
	v_or_b32_e32 v0, 0x380, v50
	v_or_b32_e32 v247, 0x700, v50
	scratch_store_b32 off, v0, off offset:8 ; 4-byte Folded Spill
	s_and_saveexec_b32 s3, vcc_lo
	s_cbranch_execz .LBB0_3
; %bb.2:
	s_load_b64 s[4:5], s[0:1], 0x18
	v_or_b32_e32 v11, 0x380, v50
	v_add_nc_u32_e32 v37, 0xa00, v48
	v_add_nc_u32_e32 v39, 0x1000, v48
	;; [unrolled: 1-line block ×5, first 2 shown]
	s_wait_kmcnt 0x0
	s_load_b128 s[8:11], s[4:5], 0x0
	s_clause 0x7
	global_load_b32 v13, v48, s[12:13]
	global_load_b32 v14, v48, s[12:13] offset:448
	global_load_b32 v15, v48, s[12:13] offset:896
	;; [unrolled: 1-line block ×7, first 2 shown]
	s_wait_kmcnt 0x0
	v_mad_co_u64_u32 v[0:1], null, s10, v249, 0
	v_mad_co_u64_u32 v[2:3], null, s8, v50, 0
	;; [unrolled: 1-line block ×4, first 2 shown]
	s_mul_u64 s[4:5], s[8:9], 0x1c0
	s_delay_alu instid0(VALU_DEP_3) | instskip(NEXT) | instid1(VALU_DEP_3)
	v_mad_co_u64_u32 v[8:9], null, s11, v249, v[1:2]
	v_mov_b32_e32 v1, v7
	s_delay_alu instid0(VALU_DEP_3) | instskip(NEXT) | instid1(VALU_DEP_4)
	v_mad_co_u64_u32 v[9:10], null, s9, v50, v[3:4]
	v_mad_co_u64_u32 v[10:11], null, s9, v11, v[5:6]
	s_delay_alu instid0(VALU_DEP_3)
	v_mad_co_u64_u32 v[11:12], null, s9, v247, v[1:2]
	v_mov_b32_e32 v1, v8
	s_clause 0x8
	global_load_b32 v12, v48, s[12:13] offset:3584
	global_load_b32 v21, v48, s[12:13] offset:4032
	;; [unrolled: 1-line block ×9, first 2 shown]
	v_mov_b32_e32 v3, v9
	v_mov_b32_e32 v5, v10
	v_lshlrev_b64_e32 v[0:1], 2, v[0:1]
	v_mov_b32_e32 v7, v11
	s_delay_alu instid0(VALU_DEP_4) | instskip(NEXT) | instid1(VALU_DEP_4)
	v_lshlrev_b64_e32 v[2:3], 2, v[2:3]
	v_lshlrev_b64_e32 v[4:5], 2, v[4:5]
	s_delay_alu instid0(VALU_DEP_4) | instskip(NEXT) | instid1(VALU_DEP_1)
	v_add_co_u32 v8, s2, s6, v0
	v_add_co_ci_u32_e64 v9, s2, s7, v1, s2
	v_lshlrev_b64_e32 v[0:1], 2, v[6:7]
	s_delay_alu instid0(VALU_DEP_3) | instskip(SKIP_1) | instid1(VALU_DEP_3)
	v_add_co_u32 v2, s2, v8, v2
	s_wait_alu 0xf1ff
	v_add_co_ci_u32_e64 v3, s2, v9, v3, s2
	v_add_co_u32 v4, s2, v8, v4
	s_wait_alu 0xf1ff
	v_add_co_ci_u32_e64 v5, s2, v9, v5, s2
	;; [unrolled: 3-line block ×3, first 2 shown]
	s_clause 0x2
	global_load_b32 v10, v[2:3], off
	global_load_b32 v11, v[4:5], off
	;; [unrolled: 1-line block ×3, first 2 shown]
	s_wait_alu 0xfffe
	v_add_co_u32 v2, s2, v2, s4
	s_wait_alu 0xf1ff
	v_add_co_ci_u32_e64 v3, s2, s5, v3, s2
	s_delay_alu instid0(VALU_DEP_2) | instskip(SKIP_1) | instid1(VALU_DEP_2)
	v_add_co_u32 v4, s2, v2, s4
	s_wait_alu 0xf1ff
	v_add_co_ci_u32_e64 v5, s2, s5, v3, s2
	global_load_b32 v31, v[2:3], off
	v_add_co_u32 v0, s2, v4, s4
	global_load_b32 v32, v[4:5], off
	s_wait_alu 0xf1ff
	v_add_co_ci_u32_e64 v1, s2, s5, v5, s2
	global_load_b32 v33, v[0:1], off
	v_add_co_u32 v2, s2, v0, s4
	s_wait_alu 0xf1ff
	v_add_co_ci_u32_e64 v3, s2, s5, v1, s2
	s_delay_alu instid0(VALU_DEP_2) | instskip(SKIP_1) | instid1(VALU_DEP_2)
	v_add_co_u32 v6, s2, v2, s4
	s_wait_alu 0xf1ff
	v_add_co_ci_u32_e64 v7, s2, s5, v3, s2
	s_delay_alu instid0(VALU_DEP_2) | instskip(SKIP_1) | instid1(VALU_DEP_2)
	v_add_co_u32 v4, s2, v6, s4
	s_wait_alu 0xf1ff
	v_add_co_ci_u32_e64 v5, s2, s5, v7, s2
	global_load_b32 v34, v[2:3], off
	global_load_b32 v6, v[6:7], off
	v_add_co_u32 v8, s2, v4, s4
	s_wait_alu 0xf1ff
	v_add_co_ci_u32_e64 v9, s2, s5, v5, s2
	s_delay_alu instid0(VALU_DEP_1) | instskip(NEXT) | instid1(VALU_DEP_1)
	v_mad_co_u64_u32 v[0:1], null, 0x380, s8, v[8:9]
	v_mad_co_u64_u32 v[1:2], null, 0x380, s9, v[1:2]
	global_load_b32 v4, v[4:5], off
	global_load_b32 v5, v[8:9], off
	;; [unrolled: 1-line block ×3, first 2 shown]
	v_add_co_u32 v0, s2, v0, s4
	s_wait_alu 0xf1ff
	v_add_co_ci_u32_e64 v1, s2, s5, v1, s2
	s_delay_alu instid0(VALU_DEP_2) | instskip(SKIP_1) | instid1(VALU_DEP_2)
	v_add_co_u32 v2, s2, v0, s4
	s_wait_alu 0xf1ff
	v_add_co_ci_u32_e64 v3, s2, s5, v1, s2
	global_load_b32 v8, v[0:1], off
	v_add_co_u32 v0, s2, v2, s4
	s_wait_alu 0xf1ff
	v_add_co_ci_u32_e64 v1, s2, s5, v3, s2
	global_load_b32 v9, v[2:3], off
	;; [unrolled: 4-line block ×5, first 2 shown]
	global_load_b32 v1, v[2:3], off
	v_add_nc_u32_e32 v2, 0x200, v48
	v_add_nc_u32_e32 v3, 0x600, v48
	s_wait_loadcnt 0x21
	v_lshrrev_b32_e32 v42, 16, v13
	s_wait_loadcnt 0x20
	v_lshrrev_b32_e32 v43, 16, v14
	;; [unrolled: 2-line block ×18, first 2 shown]
	v_mul_f16_e32 v64, v42, v10
	s_wait_loadcnt 0xf
	v_lshrrev_b32_e32 v65, 16, v11
	s_wait_loadcnt 0xe
	v_lshrrev_b32_e32 v67, 16, v30
	v_mul_f16_e32 v66, v54, v11
	v_mul_f16_e32 v42, v42, v63
	v_fma_f16 v63, v13, v63, -v64
	v_mul_f16_e32 v68, v62, v30
	v_mul_f16_e32 v54, v54, v65
	;; [unrolled: 1-line block ×3, first 2 shown]
	v_fmac_f16_e32 v42, v13, v10
	v_fma_f16 v65, v12, v65, -v66
	v_fma_f16 v66, v29, v67, -v68
	s_wait_loadcnt 0xd
	v_lshrrev_b32_e32 v64, 16, v31
	v_mul_f16_e32 v69, v43, v31
	v_fmac_f16_e32 v54, v12, v11
	v_fmac_f16_e32 v62, v29, v30
	v_pack_b32_f16 v11, v42, v63
	v_mul_f16_e32 v10, v43, v64
	s_wait_loadcnt 0xc
	v_lshrrev_b32_e32 v43, 16, v32
	v_fma_f16 v13, v14, v64, -v69
	v_mul_f16_e32 v64, v44, v32
	s_wait_loadcnt 0xb
	v_lshrrev_b32_e32 v29, 16, v33
	v_fmac_f16_e32 v10, v14, v31
	v_mul_f16_e32 v12, v44, v43
	v_mul_f16_e32 v30, v45, v33
	v_fma_f16 v14, v15, v43, -v64
	v_pack_b32_f16 v31, v54, v65
	v_pack_b32_f16 v10, v10, v13
	v_fmac_f16_e32 v12, v15, v32
	v_mul_f16_e32 v13, v45, v29
	v_fma_f16 v15, v16, v29, -v30
	v_pack_b32_f16 v42, v62, v66
	ds_store_2addr_b32 v48, v11, v10 offset1:112
	v_pack_b32_f16 v10, v12, v14
	v_fmac_f16_e32 v13, v16, v33
	s_wait_loadcnt 0xa
	v_lshrrev_b32_e32 v29, 16, v34
	v_mul_f16_e32 v30, v46, v34
	s_wait_loadcnt 0x9
	v_lshrrev_b32_e32 v12, 16, v6
	v_mul_f16_e32 v14, v51, v6
	v_pack_b32_f16 v13, v13, v15
	v_mul_f16_e32 v11, v46, v29
	v_fma_f16 v16, v17, v29, -v30
	v_mul_f16_e32 v15, v51, v12
	v_fma_f16 v12, v18, v12, -v14
	ds_store_2addr_b32 v2, v10, v13 offset0:96 offset1:208
	v_fmac_f16_e32 v11, v17, v34
	v_fmac_f16_e32 v15, v18, v6
	s_delay_alu instid0(VALU_DEP_2) | instskip(NEXT) | instid1(VALU_DEP_2)
	v_pack_b32_f16 v2, v11, v16
	v_pack_b32_f16 v12, v15, v12
	s_wait_loadcnt 0x8
	v_lshrrev_b32_e32 v14, 16, v4
	v_mul_f16_e32 v17, v52, v4
	s_wait_loadcnt 0x7
	v_lshrrev_b32_e32 v10, 16, v5
	v_mul_f16_e32 v11, v53, v5
	ds_store_2addr_b32 v3, v2, v12 offset0:64 offset1:176
	v_mul_f16_e32 v6, v52, v14
	v_fma_f16 v13, v19, v14, -v17
	s_wait_loadcnt 0x6
	v_mul_f16_e32 v3, v55, v7
	s_delay_alu instid0(VALU_DEP_3)
	v_fmac_f16_e32 v6, v19, v4
	v_mul_f16_e32 v4, v53, v10
	v_fma_f16 v10, v20, v10, -v11
	v_lshrrev_b32_e32 v11, 16, v7
	s_wait_loadcnt 0x5
	v_mul_f16_e32 v12, v56, v8
	v_pack_b32_f16 v2, v6, v13
	v_fmac_f16_e32 v4, v20, v5
	v_lshrrev_b32_e32 v6, 16, v8
	v_mul_f16_e32 v5, v55, v11
	v_fma_f16 v3, v21, v11, -v3
	s_wait_loadcnt 0x4
	v_mul_f16_e32 v11, v57, v9
	v_pack_b32_f16 v4, v4, v10
	v_lshrrev_b32_e32 v10, 16, v9
	v_fmac_f16_e32 v5, v21, v7
	v_mul_f16_e32 v7, v56, v6
	v_fma_f16 v6, v22, v6, -v12
	s_delay_alu instid0(VALU_DEP_3) | instskip(NEXT) | instid1(VALU_DEP_3)
	v_pack_b32_f16 v3, v5, v3
	v_fmac_f16_e32 v7, v22, v8
	v_mul_f16_e32 v8, v57, v10
	s_wait_loadcnt 0x3
	v_lshrrev_b32_e32 v5, 16, v35
	v_fma_f16 v10, v23, v10, -v11
	v_mul_f16_e32 v11, v58, v35
	v_pack_b32_f16 v6, v7, v6
	v_fmac_f16_e32 v8, v23, v9
	s_wait_loadcnt 0x2
	v_lshrrev_b32_e32 v9, 16, v36
	v_mul_f16_e32 v7, v58, v5
	v_fma_f16 v5, v25, v5, -v11
	v_mul_f16_e32 v11, v59, v36
	s_wait_loadcnt 0x1
	v_lshrrev_b32_e32 v12, 16, v0
	s_wait_loadcnt 0x0
	v_lshrrev_b32_e32 v14, 16, v1
	v_mul_f16_e32 v13, v59, v9
	v_mul_f16_e32 v16, v61, v1
	v_fma_f16 v9, v26, v9, -v11
	v_mul_f16_e32 v11, v60, v0
	v_mul_f16_e32 v15, v60, v12
	;; [unrolled: 1-line block ×3, first 2 shown]
	v_fmac_f16_e32 v7, v25, v35
	v_fmac_f16_e32 v13, v26, v36
	v_fma_f16 v11, v27, v12, -v11
	v_fmac_f16_e32 v15, v27, v0
	v_fma_f16 v0, v28, v14, -v16
	v_fmac_f16_e32 v17, v28, v1
	v_pack_b32_f16 v1, v8, v10
	v_pack_b32_f16 v5, v7, v5
	v_pack_b32_f16 v7, v13, v9
	v_pack_b32_f16 v8, v15, v11
	v_pack_b32_f16 v0, v17, v0
	ds_store_2addr_b32 v37, v2, v4 offset0:32 offset1:144
	ds_store_2addr_b32 v38, v31, v3 offset0:128 offset1:240
	;; [unrolled: 1-line block ×5, first 2 shown]
	ds_store_b32 v48, v42 offset:7168
.LBB0_3:
	s_or_b32 exec_lo, exec_lo, s3
	s_clause 0x1
	s_load_b64 s[4:5], s[0:1], 0x20
	s_load_b64 s[2:3], s[0:1], 0x8
	v_mov_b32_e32 v8, 0
                                        ; kill: def $vgpr0 killed $sgpr0 killed $exec
	global_wb scope:SCOPE_SE
	s_wait_storecnt_dscnt 0x0
	s_wait_kmcnt 0x0
	s_barrier_signal -1
	s_barrier_wait -1
	global_inv scope:SCOPE_SE
                                        ; implicit-def: $vgpr16
                                        ; implicit-def: $vgpr1
                                        ; implicit-def: $vgpr3
                                        ; implicit-def: $vgpr5
                                        ; implicit-def: $vgpr7
                                        ; implicit-def: $vgpr11
                                        ; implicit-def: $vgpr13
                                        ; implicit-def: $vgpr15
                                        ; implicit-def: $vgpr65
	s_and_saveexec_b32 s0, vcc_lo
	s_cbranch_execz .LBB0_5
; %bb.4:
	v_add_nc_u32_e32 v0, 0x200, v48
	v_add_nc_u32_e32 v1, 0x600, v48
	;; [unrolled: 1-line block ×3, first 2 shown]
	ds_load_2addr_b32 v[8:9], v48 offset1:112
	v_add_nc_u32_e32 v3, 0x1400, v48
	ds_load_2addr_b32 v[14:15], v0 offset0:96 offset1:208
	ds_load_2addr_b32 v[12:13], v1 offset0:64 offset1:176
	v_add_nc_u32_e32 v0, 0xc00, v48
	v_add_nc_u32_e32 v1, 0x1000, v48
	;; [unrolled: 1-line block ×3, first 2 shown]
	ds_load_2addr_b32 v[10:11], v2 offset0:32 offset1:144
	ds_load_2addr_b32 v[6:7], v0 offset0:128 offset1:240
	;; [unrolled: 1-line block ×5, first 2 shown]
	ds_load_b32 v16, v48 offset:7168
	s_wait_dscnt 0x7
	v_alignbit_b32 v65, v14, v14, 16
.LBB0_5:
	s_wait_alu 0xfffe
	s_or_b32 exec_lo, exec_lo, s0
	s_wait_dscnt 0x0
	v_pk_add_f16 v14, v9, v16 neg_lo:[0,1] neg_hi:[0,1]
	v_pk_add_f16 v22, v65, v1 op_sel:[1,0] op_sel_hi:[0,1] neg_lo:[0,1] neg_hi:[0,1]
	v_pk_add_f16 v21, v16, v9
	v_pk_add_f16 v17, v1, v65 op_sel:[1,0] op_sel_hi:[0,1]
	v_pk_add_f16 v18, v15, v0 neg_lo:[0,1] neg_hi:[0,1]
	v_lshrrev_b32_e32 v85, 16, v14
	v_lshrrev_b32_e32 v78, 16, v22
	;; [unrolled: 1-line block ×3, first 2 shown]
	v_mul_f16_e32 v46, 0xb5c8, v14
	v_lshrrev_b32_e32 v57, 16, v17
	v_mul_f16_e32 v86, 0xb5c8, v85
	v_mul_f16_e32 v36, 0xb964, v78
	v_lshrrev_b32_e32 v79, 16, v18
	v_lshrrev_b32_e32 v38, 16, v8
	v_pk_add_f16 v20, v0, v15
	v_fmamk_f16 v23, v21, 0x3b76, v86
	v_mul_f16_e32 v43, 0xb964, v22
	v_fma_f16 v25, v58, 0x3b76, -v46
	v_fmamk_f16 v26, v57, 0x39e9, v36
	v_mul_f16_e32 v35, 0xbb29, v79
	v_add_f16_e32 v23, v23, v8
	v_pk_add_f16 v19, v12, v3 neg_lo:[0,1] neg_hi:[0,1]
	v_fma_f16 v27, v17, 0x39e9, -v43
	v_add_f16_e32 v25, v25, v38
	v_lshrrev_b32_e32 v59, 16, v20
	v_add_f16_e32 v23, v26, v23
	v_fmamk_f16 v26, v20, 0x3722, v35
	v_mul_f16_e32 v44, 0xbb29, v18
	v_add_f16_e32 v27, v27, v25
	v_lshrrev_b32_e32 v81, 16, v19
	v_pk_add_f16 v25, v3, v12
	v_add_f16_e32 v28, v26, v23
	v_fma_f16 v26, v59, 0x3722, -v44
	v_pk_add_f16 v23, v13, v2 neg_lo:[0,1] neg_hi:[0,1]
	v_mul_f16_e32 v37, 0xbbf7, v81
	v_lshrrev_b32_e32 v61, 16, v25
	v_mul_f16_e32 v53, 0xbbf7, v19
	v_add_f16_e32 v29, v26, v27
	v_lshrrev_b32_e32 v80, 16, v23
	v_pk_add_f16 v27, v2, v13
	v_pk_add_f16 v26, v10, v5 neg_lo:[0,1] neg_hi:[0,1]
	v_fmamk_f16 v30, v25, 0x2de8, v37
	v_fma_f16 v31, v61, 0x2de8, -v53
	v_mul_f16_e32 v39, 0xbbb2, v80
	v_lshrrev_b32_e32 v62, 16, v27
	v_mul_f16_e32 v55, 0xbbb2, v23
	v_lshrrev_b32_e32 v82, 16, v26
	v_add_f16_e32 v28, v30, v28
	v_add_f16_e32 v31, v31, v29
	v_fmamk_f16 v29, v27, 0xb461, v39
	v_fma_f16 v32, v62, 0xb461, -v55
	v_pk_add_f16 v30, v5, v10
	v_mul_f16_e32 v40, 0xba62, v82
	v_mul_f16_e32 v56, 0xba62, v26
	v_add_f16_e32 v28, v29, v28
	v_pk_add_f16 v29, v11, v4 neg_lo:[0,1] neg_hi:[0,1]
	v_add_f16_e32 v33, v32, v31
	v_fmamk_f16 v32, v30, 0xb8d2, v40
	v_lshrrev_b32_e32 v63, 16, v30
	v_pk_add_f16 v31, v4, v11
	v_lshrrev_b32_e32 v84, 16, v29
	v_mul_f16_e32 v54, 0xb836, v29
	v_add_f16_e32 v34, v32, v28
	v_pk_add_f16 v28, v6, v7 neg_lo:[0,1] neg_hi:[0,1]
	v_fma_f16 v42, v63, 0xb8d2, -v56
	v_mul_f16_e32 v41, 0xb836, v84
	v_lshrrev_b32_e32 v64, 16, v31
	v_pk_add_f16 v32, v7, v6
	v_lshrrev_b32_e32 v83, 16, v28
	v_add_f16_e32 v33, v42, v33
	v_fmamk_f16 v45, v31, 0xbacd, v41
	v_fma_f16 v51, v64, 0xbacd, -v54
	v_lshrrev_b32_e32 v60, 16, v32
	v_mul_f16_e32 v42, 0xb1e1, v83
	v_mul_f16_e32 v52, 0xb1e1, v28
	v_add_f16_e32 v34, v45, v34
	v_add_f16_e32 v45, v51, v33
	v_mul_lo_u16 v24, v50, 17
	v_fmamk_f16 v33, v32, 0xbbdd, v42
	v_fma_f16 v51, v60, 0xbbdd, -v52
	global_wb scope:SCOPE_SE
	s_barrier_signal -1
	s_barrier_wait -1
	v_add_f16_e32 v33, v33, v34
	v_add_f16_e32 v34, v51, v45
	global_inv scope:SCOPE_SE
	s_and_saveexec_b32 s0, vcc_lo
	s_cbranch_execz .LBB0_7
; %bb.6:
	v_mul_f16_e32 v87, 0xb964, v85
	v_alignbit_b32 v88, v65, v65, 16
	v_mul_f16_e32 v71, 0xbbf7, v78
	v_mul_f16_e32 v70, 0xba62, v79
	;; [unrolled: 1-line block ×3, first 2 shown]
	v_fmamk_f16 v65, v21, 0x39e9, v87
	v_mul_f16_e32 v69, 0xb1e1, v81
	v_fmamk_f16 v72, v57, 0x2de8, v71
	v_fmamk_f16 v75, v20, 0xb8d2, v70
	v_mul_f16_e32 v76, 0xb8d2, v17
	v_add_f16_e32 v73, v65, v8
	v_mul_f16_e32 v68, 0x3836, v80
	v_mul_f16_e32 v74, 0xbbdd, v59
	v_fmamk_f16 v89, v25, 0xbbdd, v69
	v_fmamk_f16 v90, v22, 0x3a62, v76
	v_add_f16_e32 v72, v72, v73
	v_fmamk_f16 v73, v14, 0x3b29, v77
	v_alignbit_b32 v45, v8, v8, 16
	v_mul_f16_e32 v67, 0x3bb2, v82
	v_fmamk_f16 v92, v27, 0xbacd, v68
	v_add_f16_e32 v75, v75, v72
	v_add_f16_e32 v91, v73, v38
	v_mul_f16_e32 v72, 0xb461, v61
	v_mul_f16_e32 v66, 0x3b29, v84
	;; [unrolled: 1-line block ×3, first 2 shown]
	v_add_f16_e32 v75, v89, v75
	v_fmamk_f16 v89, v18, 0xb1e1, v74
	v_add_f16_e32 v90, v90, v91
	v_fmamk_f16 v91, v30, 0xb461, v67
	v_fmamk_f16 v93, v19, 0xbbb2, v72
	v_add_f16_e32 v92, v92, v75
	v_pk_add_f16 v9, v9, v45 op_sel:[0,1] op_sel_hi:[1,0]
	v_add_f16_e32 v89, v89, v90
	v_mul_f16_e32 v65, 0x35c8, v83
	v_mul_f16_e32 v75, 0x3b76, v63
	v_fmamk_f16 v90, v31, 0x3722, v66
	v_add_f16_e32 v91, v91, v92
	v_fmamk_f16 v92, v23, 0xb964, v73
	v_add_f16_e32 v89, v93, v89
	v_pk_add_f16 v88, v88, v9
	v_fmamk_f16 v93, v32, 0x3b76, v65
	v_add_f16_e32 v90, v90, v91
	v_fmamk_f16 v91, v26, 0x35c8, v75
	v_add_f16_e32 v89, v92, v89
	v_pk_add_f16 v88, v15, v88
	v_mul_f16_e32 v98, 0x2de8, v58
	v_add_f16_e32 v9, v93, v90
	v_mul_f16_e32 v90, 0xbbf7, v85
	v_add_f16_e32 v89, v91, v89
	v_mul_f16_e32 v91, 0xbbb2, v85
	v_pk_add_f16 v12, v12, v88
	v_mul_f16_e32 v88, 0xba62, v85
	v_mul_f16_e32 v85, 0xb836, v85
	;; [unrolled: 1-line block ×3, first 2 shown]
	v_fmamk_f16 v93, v21, 0x2de8, v90
	v_pk_add_f16 v95, v13, v12
	v_fmamk_f16 v12, v21, 0xb8d2, v88
	v_fmamk_f16 v13, v21, 0xbacd, v85
	;; [unrolled: 1-line block ×3, first 2 shown]
	v_mul_f16_e32 v15, 0x2de8, v64
	v_sub_f16_e32 v86, v92, v86
	v_add_f16_e32 v96, v12, v8
	v_add_f16_e32 v97, v13, v8
	v_fma_f16 v12, v21, 0xbacd, -v85
	v_fma_f16 v13, v21, 0xb8d2, -v88
	;; [unrolled: 1-line block ×4, first 2 shown]
	v_fmamk_f16 v90, v14, 0x3bf7, v98
	v_mul_f16_e32 v91, 0xbbdd, v17
	v_fma_f16 v87, v21, 0x39e9, -v87
	v_add_f16_e32 v99, v12, v8
	v_add_f16_e32 v100, v13, v8
	;; [unrolled: 1-line block ×3, first 2 shown]
	v_fmamk_f16 v13, v22, 0x31e1, v91
	v_mul_f16_e32 v90, 0xb461, v59
	v_fmamk_f16 v92, v29, 0x3bf7, v15
	v_add_f16_e32 v93, v93, v8
	v_add_f16_e32 v94, v94, v8
	;; [unrolled: 1-line block ×6, first 2 shown]
	v_fmamk_f16 v102, v18, 0xbbb2, v90
	v_mul_f16_e32 v103, 0x3b76, v61
	v_add_f16_e32 v12, v86, v8
	v_mul_f16_e32 v13, 0xbacd, v60
	v_pk_add_f16 v8, v10, v95
	v_add_f16_e32 v10, v102, v85
	v_fmamk_f16 v85, v19, 0xb5c8, v103
	v_mul_f16_e32 v95, 0x3722, v62
	v_add_f16_e32 v86, v92, v89
	v_fmamk_f16 v89, v28, 0x3836, v13
	v_pk_add_f16 v11, v11, v8
	v_add_f16_e32 v10, v85, v10
	v_fmamk_f16 v85, v23, 0x3b29, v95
	v_mul_f16_e32 v92, 0xbacd, v63
	v_add_f16_e32 v8, v89, v86
	v_pk_add_f16 v6, v6, v11
	v_mul_f16_e32 v89, 0xb1e1, v78
	v_add_f16_e32 v10, v85, v10
	v_fmamk_f16 v11, v26, 0x3836, v92
	v_mul_f16_e32 v104, 0x3bb2, v79
	v_pk_add_f16 v86, v7, v6
	v_fmamk_f16 v7, v57, 0xbbdd, v89
	v_mul_f16_e32 v107, 0xbb29, v80
	v_add_f16_e32 v6, v11, v10
	v_fmamk_f16 v11, v20, 0xb461, v104
	v_mul_f16_e32 v109, 0xb836, v82
	v_add_f16_e32 v7, v7, v93
	v_mul_f16_e32 v93, 0x35c8, v81
	v_mul_f16_e32 v111, 0x3a62, v84
	;; [unrolled: 1-line block ×4, first 2 shown]
	v_add_f16_e32 v7, v11, v7
	v_fmamk_f16 v11, v25, 0x3b76, v93
	v_mul_f16_e32 v117, 0x3964, v79
	v_mul_f16_e32 v102, 0xb461, v58
	v_mul_f16_e32 v119, 0xbb29, v81
	v_mul_f16_e32 v105, 0xbacd, v17
	v_add_f16_e32 v7, v11, v7
	v_fmamk_f16 v11, v27, 0x3722, v107
	v_fmamk_f16 v10, v14, 0x3bb2, v102
	v_mul_f16_e32 v121, 0xb1e1, v80
	v_fmamk_f16 v85, v22, 0xb836, v105
	v_mul_f16_e32 v106, 0x39e9, v59
	v_add_f16_e32 v7, v11, v7
	v_fmamk_f16 v11, v30, 0xbacd, v109
	v_add_f16_e32 v10, v10, v38
	v_mul_f16_e32 v124, 0x3bf7, v82
	v_mul_f16_e32 v108, 0x3722, v61
	;; [unrolled: 1-line block ×3, first 2 shown]
	v_add_f16_e32 v7, v11, v7
	v_fmamk_f16 v11, v31, 0xb8d2, v111
	v_add_f16_e32 v10, v85, v10
	v_fmamk_f16 v85, v18, 0xb964, v106
	v_mul_f16_e32 v110, 0xbbdd, v62
	v_mul_f16_e64 v128, 0xba62, v83
	v_add_f16_e32 v7, v11, v7
	v_fmamk_f16 v11, v32, 0x39e9, v113
	v_add_f16_e32 v10, v85, v10
	v_fmamk_f16 v85, v19, 0x3b29, v108
	v_mul_f16_e32 v112, 0x2de8, v63
	v_mul_f16_e64 v130, 0x3bb2, v78
	v_add_f16_e32 v7, v11, v7
	v_fmamk_f16 v11, v57, 0xbacd, v115
	v_add_f16_e32 v10, v85, v10
	v_fmamk_f16 v85, v23, 0x31e1, v110
	v_mul_f16_e32 v114, 0x3b76, v64
	v_mul_f16_e64 v132, 0xb5c8, v79
	v_add_f16_e32 v11, v11, v94
	v_fmamk_f16 v94, v20, 0x39e9, v117
	v_add_f16_e32 v10, v85, v10
	v_fmamk_f16 v85, v26, 0xbbf7, v112
	v_mul_f16_e32 v116, 0xb8d2, v60
	v_mul_f16_e64 v134, 0xb836, v81
	v_add_f16_e32 v11, v94, v11
	v_fmamk_f16 v94, v25, 0x3722, v119
	v_add_f16_e32 v10, v85, v10
	v_fmamk_f16 v85, v29, 0x35c8, v114
	v_mul_f16_e32 v118, 0xb8d2, v58
	v_mul_f16_e64 v136, 0x3bf7, v80
	v_add_f16_e32 v11, v94, v11
	v_fmamk_f16 v94, v27, 0xbbdd, v121
	v_add_f16_e32 v10, v85, v10
	v_fmamk_f16 v85, v28, 0x3a62, v116
	v_mul_f16_e32 v120, 0xb461, v17
	v_mul_f16_e64 v138, 0xb964, v82
	v_add_f16_e32 v11, v94, v11
	v_fmamk_f16 v94, v30, 0x2de8, v124
	v_add_f16_e32 v10, v85, v10
	v_fmamk_f16 v85, v14, 0x3a62, v118
	v_fmamk_f16 v122, v22, 0xbbb2, v120
	v_mul_f16_e32 v123, 0x3b76, v59
	v_add_f16_e32 v11, v94, v11
	v_fmamk_f16 v94, v31, 0x3b76, v126
	v_add_f16_e32 v85, v85, v38
	v_mul_f16_e64 v141, 0xb1e1, v84
	v_mul_f16_e32 v125, 0xbacd, v61
	v_mul_f16_e64 v143, 0x3b29, v83
	v_add_f16_e32 v11, v94, v11
	v_fma_f16 v94, 0xb8d2, v32, v128
	v_add_f16_e32 v85, v122, v85
	v_fmamk_f16 v122, v18, 0x35c8, v123
	v_mul_f16_e32 v127, 0x2de8, v62
	v_mul_f16_e32 v78, 0x3b29, v78
	v_add_f16_e32 v11, v94, v11
	v_fma_f16 v94, 0xb461, v57, v130
	v_add_f16_e32 v85, v122, v85
	v_fmamk_f16 v122, v19, 0x3836, v125
	v_mul_f16_e64 v129, 0x39e9, v63
	v_mul_f16_e32 v79, 0xbbf7, v79
	v_add_f16_e32 v94, v94, v96
	v_fma_f16 v96, 0x3b76, v20, v132
	v_add_f16_e32 v85, v122, v85
	v_fmamk_f16 v122, v23, 0xbbf7, v127
	v_mul_f16_e64 v131, 0xbbdd, v64
	v_mul_f16_e32 v81, 0x3a62, v81
	v_add_f16_e32 v94, v96, v94
	v_fma_f16 v96, 0xbacd, v25, v134
	v_add_f16_e32 v85, v122, v85
	v_fma_f16 v122, 0x3964, v26, v129
	v_mul_f16_e64 v133, 0x3722, v60
	v_mul_f16_e32 v80, 0xb5c8, v80
	v_add_f16_e32 v94, v96, v94
	v_fma_f16 v96, 0x2de8, v27, v136
	v_add_f16_e32 v85, v122, v85
	v_fma_f16 v122, 0x31e1, v29, v131
	;; [unrolled: 6-line block ×4, first 2 shown]
	v_fmac_f16_e64 v135, 0xb836, v14
	v_fma_f16 v139, 0xbb29, v22, v137
	v_add_f16_e32 v94, v96, v94
	v_fma_f16 v96, 0x3722, v32, v143
	v_add_f16_e32 v122, v122, v38
	v_mul_f16_e64 v140, 0x2de8, v59
	v_add_f16_e64 v135, v135, v38
	v_fmac_f16_e64 v137, 0x3b29, v22
	v_add_f16_e32 v94, v96, v94
	v_fmamk_f16 v96, v57, 0x3722, v78
	v_fma_f16 v78, v57, 0x3722, -v78
	v_add_f16_e64 v122, v139, v122
	v_fma_f16 v139, 0x3bf7, v18, v140
	v_mul_f16_e64 v142, 0xb8d2, v61
	v_add_f16_e32 v96, v96, v97
	v_fmamk_f16 v97, v20, 0x2de8, v79
	v_add_f16_e32 v78, v78, v99
	v_fma_f16 v79, v20, 0x2de8, -v79
	v_add_f16_e64 v135, v137, v135
	v_fmac_f16_e64 v140, 0xbbf7, v18
	v_add_f16_e32 v96, v97, v96
	v_fmamk_f16 v97, v25, 0xb8d2, v81
	v_add_f16_e32 v78, v79, v78
	v_fma_f16 v79, v25, 0xb8d2, -v81
	v_add_f16_e64 v122, v139, v122
	v_fma_f16 v139, 0xba62, v19, v142
	v_add_f16_e32 v96, v97, v96
	v_fmamk_f16 v97, v27, 0x3b76, v80
	v_add_f16_e32 v78, v79, v78
	v_fma_f16 v79, v27, 0x3b76, -v80
	v_mul_f16_e64 v144, 0x3b76, v62
	v_add_f16_e64 v135, v140, v135
	v_add_f16_e32 v96, v97, v96
	v_fmamk_f16 v97, v30, 0xbbdd, v82
	v_add_f16_e32 v78, v79, v78
	v_fma_f16 v79, v30, 0xbbdd, -v82
	v_fma_f16 v82, v57, 0xb461, -v130
	v_fmac_f16_e64 v142, 0x3a62, v19
	v_add_f16_e32 v96, v97, v96
	v_fmamk_f16 v97, v31, 0x39e9, v84
	v_add_f16_e32 v78, v79, v78
	v_fma_f16 v79, v31, 0x39e9, -v84
	v_add_f16_e32 v82, v82, v100
	v_fma_f16 v84, v20, 0x3b76, -v132
	v_add_f16_e64 v122, v139, v122
	v_fma_f16 v139, 0x35c8, v23, v144
	v_add_f16_e32 v78, v79, v78
	v_mul_f16_e64 v145, 0xbbdd, v63
	v_add_f16_e32 v79, v84, v82
	v_fma_f16 v82, v25, 0xbacd, -v134
	v_add_f16_e64 v135, v142, v135
	v_fmac_f16_e64 v144, 0xb5c8, v23
	v_add_f16_e64 v122, v139, v122
	v_fma_f16 v139, 0x31e1, v26, v145
	v_add_f16_e32 v79, v82, v79
	v_fma_f16 v82, v27, 0x2de8, -v136
	v_add_f16_e32 v96, v97, v96
	v_mul_f16_e32 v83, 0xbbb2, v83
	v_add_f16_e64 v97, v144, v135
	v_fmac_f16_e64 v145, 0xb1e1, v26
	v_add_f16_e32 v79, v82, v79
	v_fma_f16 v82, v30, 0x39e9, -v138
	v_fmac_f16_e32 v118, 0xba62, v14
	v_fmamk_f16 v99, v32, 0xb461, v83
	v_add_f16_e64 v81, v145, v97
	v_fmac_f16_e32 v120, 0x3bb2, v22
	v_add_f16_e32 v79, v82, v79
	v_fma_f16 v82, v31, 0xbbdd, -v141
	v_add_f16_e32 v97, v118, v38
	v_add_f16_e32 v80, v99, v96
	v_fmac_f16_e32 v123, 0xb5c8, v18
	v_fmac_f16_e32 v98, 0xbbf7, v14
	v_add_f16_e32 v79, v82, v79
	v_fma_f16 v82, v57, 0xbacd, -v115
	v_add_f16_e32 v96, v120, v97
	v_fma_f16 v97, v20, 0x39e9, -v117
	v_fmac_f16_e32 v77, 0xbb29, v14
	v_fmac_f16_e32 v125, 0xb836, v19
	v_add_f16_e32 v82, v82, v101
	v_add_f16_e32 v96, v123, v96
	;; [unrolled: 1-line block ×3, first 2 shown]
	v_fmac_f16_e32 v91, 0xb1e1, v22
	v_fma_f16 v89, v57, 0xbbdd, -v89
	v_add_f16_e32 v82, v97, v82
	v_fma_f16 v97, v25, 0x3722, -v119
	v_add_f16_e32 v77, v77, v38
	v_fmac_f16_e32 v76, 0xba62, v22
	v_mul_f16_e32 v58, 0x3b76, v58
	v_add_f16_e32 v96, v125, v96
	v_fmac_f16_e32 v127, 0x3bf7, v23
	v_fmac_f16_e32 v102, 0xbbb2, v14
	v_add_f16_e32 v91, v91, v98
	v_fmac_f16_e32 v90, 0x3bb2, v18
	v_add_f16_e32 v82, v97, v82
	v_fma_f16 v97, v27, 0xbbdd, -v121
	v_add_f16_e32 v88, v89, v88
	v_fma_f16 v89, v20, 0xb461, -v104
	v_add_f16_e32 v76, v76, v77
	v_mul_f16_e32 v77, 0x39e9, v17
	v_fmac_f16_e32 v74, 0x31e1, v18
	v_add_f16_e32 v46, v46, v58
	v_add_f16_e32 v84, v127, v96
	;; [unrolled: 1-line block ×4, first 2 shown]
	v_fmac_f16_e32 v103, 0x35c8, v19
	v_add_f16_e32 v82, v97, v82
	v_fma_f16 v91, v30, 0x2de8, -v124
	v_add_f16_e32 v88, v89, v88
	v_fma_f16 v89, v25, 0x3b76, -v93
	v_mul_f16_e32 v59, 0x3722, v59
	v_add_f16_e32 v74, v74, v76
	v_fmac_f16_e32 v72, 0x3bb2, v19
	v_add_f16_e32 v38, v46, v38
	v_add_f16_e32 v43, v43, v77
	;; [unrolled: 1-line block ×3, first 2 shown]
	v_fmac_f16_e32 v95, 0xbb29, v23
	v_add_f16_e32 v82, v91, v82
	v_fma_f16 v91, v31, 0x3b76, -v126
	v_add_f16_e32 v88, v89, v88
	v_fma_f16 v89, v27, 0x3722, -v107
	v_mul_f16_e32 v61, 0x2de8, v61
	v_add_f16_e32 v72, v72, v74
	v_fmac_f16_e32 v73, 0x3964, v23
	v_add_f16_e32 v38, v43, v38
	v_add_f16_e32 v44, v44, v59
	;; [unrolled: 1-line block ×3, first 2 shown]
	v_fmac_f16_e32 v92, 0xb836, v26
	v_mul_f16_e32 v95, 0xb8d2, v64
	v_add_f16_e32 v82, v91, v82
	v_fma_f16 v93, v32, 0xb8d2, -v128
	v_add_f16_e32 v88, v89, v88
	v_fma_f16 v89, v30, 0xbacd, -v109
	v_mul_f16_e32 v62, 0xb461, v62
	v_add_f16_e32 v72, v73, v72
	v_fmac_f16_e32 v75, 0xb5c8, v26
	v_add_f16_e32 v38, v44, v38
	v_add_f16_e32 v53, v53, v61
	v_add_f16_e32 v90, v92, v90
	v_fmamk_f16 v91, v29, 0xba62, v95
	v_fmac_f16_e32 v95, 0x3a62, v29
	v_mul_f16_e32 v92, 0x39e9, v60
	v_add_f16_e32 v82, v93, v82
	v_add_f16_e32 v88, v89, v88
	v_fma_f16 v89, v31, 0xb8d2, -v111
	v_mul_f16_e32 v93, 0x39e9, v57
	v_mul_f16_e32 v63, 0xb8d2, v63
	v_fma_f16 v57, v57, 0x2de8, -v71
	v_pk_mul_f16 v73, 0x39e93722, v21
	v_add_f16_e32 v72, v75, v72
	v_fmac_f16_e32 v15, 0xbbf7, v29
	v_add_f16_e32 v38, v53, v38
	v_add_f16_e32 v55, v55, v62
	;; [unrolled: 1-line block ×3, first 2 shown]
	v_fmamk_f16 v95, v28, 0x3964, v92
	v_add_f16_e32 v88, v89, v88
	v_mul_f16_e32 v89, 0x3722, v20
	v_add_f16_e32 v57, v57, v87
	v_pk_mul_f16 v87, 0xba62bbf7, v22
	v_fma_f16 v70, v20, 0xb8d2, -v70
	v_pk_fma_f16 v75, 0xbb29b964, v14, v73 op_sel:[0,0,1] op_sel_hi:[1,1,0] neg_lo:[0,1,0] neg_hi:[0,1,0]
	v_add_f16_e32 v15, v15, v72
	v_pk_fma_f16 v73, 0xbb29b964, v14, v73 op_sel:[0,0,1] op_sel_hi:[1,1,0]
	v_add_f16_e32 v38, v55, v38
	v_sub_f16_e32 v36, v93, v36
	v_fmac_f16_e32 v13, 0xb836, v28
	v_add_f16_e32 v56, v56, v63
	v_add_f16_e32 v90, v95, v90
	v_fma_f16 v95, v32, 0x39e9, -v113
	v_mul_f16_e32 v76, 0x2de8, v25
	v_pk_mul_f16 v58, 0xb8d2bbdd, v20
	v_add_f16_e32 v57, v70, v57
	v_pk_fma_f16 v70, 0xb8d22de8, v17, v87 neg_lo:[0,0,1] neg_hi:[0,0,1]
	v_fma_f16 v69, v25, 0xbbdd, -v69
	v_pk_fma_f16 v87, 0xb8d22de8, v17, v87
	v_add_f16_e32 v13, v13, v15
	v_add_f16_e32 v12, v36, v12
	v_sub_f16_e32 v15, v89, v35
	v_add_f16_e32 v36, v56, v38
	v_pk_add_f16 v4, v4, v86
	v_bfi_b32 v38, 0xffff, v73, v75
	v_add_f16_e32 v88, v95, v88
	v_mul_f16_e32 v95, 0xb461, v27
	v_pk_fma_f16 v46, 0x31e1ba62, v18, v58 op_sel:[0,0,1] op_sel_hi:[1,1,0] neg_lo:[0,1,0] neg_hi:[0,1,0]
	v_pk_mul_f16 v77, 0xbbddb461, v25
	v_add_f16_e32 v57, v69, v57
	v_fma_f16 v68, v27, 0xbacd, -v68
	v_pk_fma_f16 v58, 0x31e1ba62, v18, v58 op_sel:[0,0,1] op_sel_hi:[1,1,0]
	v_add_f16_e32 v12, v15, v12
	v_sub_f16_e32 v15, v76, v37
	v_pk_add_f16 v4, v5, v4
	v_pk_add_f16 v5, v38, v45
	v_bfi_b32 v38, 0xffff, v87, v70
	v_mul_f16_e64 v146, 0x39e9, v64
	v_mul_f16_e32 v74, 0xb8d2, v30
	v_pk_mul_f16 v69, 0xbacd39e9, v27
	v_pk_fma_f16 v43, 0x3bb2b1e1, v19, v77 op_sel:[0,0,1] op_sel_hi:[1,1,0] neg_lo:[0,1,0] neg_hi:[0,1,0]
	v_add_f16_e32 v57, v68, v57
	v_fma_f16 v67, v30, 0xb461, -v67
	v_pk_fma_f16 v77, 0x3bb2b1e1, v19, v77 op_sel:[0,0,1] op_sel_hi:[1,1,0]
	v_add_f16_e32 v12, v15, v12
	v_sub_f16_e32 v15, v95, v39
	v_pk_add_f16 v2, v2, v4
	v_pk_add_f16 v4, v38, v5
	v_bfi_b32 v5, 0xffff, v58, v46
	v_add_f16_e64 v122, v139, v122
	v_fma_f16 v139, 0xb964, v29, v146
	v_mul_f16_e32 v71, 0xbacd, v31
	v_mul_f16_e32 v64, 0xbacd, v64
	v_pk_fma_f16 v59, 0x39643836, v23, v69 op_sel:[0,0,1] op_sel_hi:[1,1,0] neg_lo:[0,1,0] neg_hi:[0,1,0]
	v_pk_mul_f16 v68, 0xb4613b76, v30
	v_add_f16_e32 v57, v67, v57
	v_fma_f16 v66, v31, 0x3722, -v66
	v_pk_fma_f16 v69, 0x39643836, v23, v69 op_sel:[0,0,1] op_sel_hi:[1,1,0]
	v_add_f16_e32 v12, v15, v12
	v_sub_f16_e32 v15, v74, v40
	v_pk_add_f16 v2, v3, v2
	v_pk_add_f16 v3, v5, v4
	v_bfi_b32 v4, 0xffff, v77, v43
	v_add_f16_e64 v122, v139, v122
	v_mul_f16_e64 v139, 0xb461, v60
	v_pk_mul_f16 v61, 0x37222de8, v31
	v_pk_fma_f16 v67, 0xb5c83bb2, v26, v68 op_sel:[0,0,1] op_sel_hi:[1,1,0] neg_lo:[0,1,0] neg_hi:[0,1,0]
	v_add_f16_e32 v57, v66, v57
	v_mul_f16_e32 v66, 0xbbdd, v32
	v_pk_fma_f16 v68, 0xb5c83bb2, v26, v68 op_sel:[0,0,1] op_sel_hi:[1,1,0]
	v_mul_f16_e32 v60, 0xbbdd, v60
	v_add_f16_e32 v37, v54, v64
	v_add_f16_e32 v5, v15, v12
	v_sub_f16_e32 v12, v71, v41
	v_pk_add_f16 v0, v0, v2
	v_pk_add_f16 v2, v4, v3
	v_bfi_b32 v3, 0xffff, v69, v59
	v_pk_fma_f16 v53, 0xbbf73b29, v29, v61 op_sel:[0,0,1] op_sel_hi:[1,1,0] neg_lo:[0,1,0] neg_hi:[0,1,0]
	v_pk_fma_f16 v61, 0xbbf73b29, v29, v61 op_sel:[0,0,1] op_sel_hi:[1,1,0]
	v_add_f16_e32 v36, v37, v36
	v_add_f16_e32 v37, v52, v60
	;; [unrolled: 1-line block ×3, first 2 shown]
	v_sub_f16_e32 v5, v66, v42
	v_pk_add_f16 v0, v1, v0
	v_pk_add_f16 v1, v3, v2
	v_bfi_b32 v2, 0xffff, v68, v67
	v_pk_mul_f16 v62, 0x3b76bacd, v32
	v_add_f16_e32 v15, v37, v36
	v_and_b32_e32 v12, 0xffff, v24
	v_add_f16_e32 v3, v5, v4
	v_pk_mul_f16 v5, 0xbbdd, v21 op_sel_hi:[0,1]
	v_pk_add_f16 v1, v2, v1
	v_bfi_b32 v2, 0xffff, v61, v53
	v_fmac_f16_e64 v129, 0xb964, v26
	v_pk_add_f16 v44, v73, v45
	v_pk_fma_f16 v55, 0xb83635c8, v28, v62 op_sel:[0,0,1] op_sel_hi:[1,1,0] neg_lo:[0,1,0] neg_hi:[0,1,0]
	v_lshlrev_b32_e32 v4, 2, v12
	v_pk_add_f16 v0, v16, v0
	v_pack_b32_f16 v3, v3, v15
	v_pk_fma_f16 v12, 0xb83635c8, v28, v62 op_sel:[0,0,1] op_sel_hi:[1,1,0]
	v_pk_fma_f16 v15, 0xb1e1, v14, v5 op_sel:[0,0,1] op_sel_hi:[0,1,0] neg_lo:[0,1,0] neg_hi:[0,1,0]
	v_pk_mul_f16 v16, 0x35c8, v22 op_sel_hi:[0,1]
	v_pk_add_f16 v1, v2, v1
	v_pk_fma_f16 v2, 0xb1e1, v14, v5 op_sel:[0,0,1] op_sel_hi:[0,1,0]
	v_add_f16_e64 v84, v129, v84
	v_fmac_f16_e64 v131, 0xb1e1, v29
	v_fmac_f16_e32 v105, 0x3836, v22
	v_pk_add_f16 v44, v87, v44
	v_bfi_b32 v5, 0xffff, v12, v55
	v_pk_add_f16 v12, v15, v45
	v_pk_fma_f16 v14, 0x3b76, v17, v16 op_sel_hi:[0,1,1] neg_lo:[0,0,1] neg_hi:[0,0,1]
	v_pk_mul_f16 v15, 0xbacd, v20 op_sel_hi:[0,1]
	v_pk_add_f16 v2, v2, v45
	v_pk_fma_f16 v16, 0x3b76, v17, v16 op_sel_hi:[0,1,1]
	v_fma_f16 v83, v32, 0xb461, -v83
	v_add_f16_e64 v84, v131, v84
	v_fmac_f16_e64 v133, 0x3b29, v28
	v_add_f16_e32 v96, v105, v96
	v_fmac_f16_e32 v106, 0x3964, v18
	v_pk_add_f16 v44, v58, v44
	v_pk_add_f16 v1, v5, v1
	;; [unrolled: 1-line block ×3, first 2 shown]
	v_pk_fma_f16 v12, 0xb836, v18, v15 op_sel:[0,0,1] op_sel_hi:[0,1,0] neg_lo:[0,1,0] neg_hi:[0,1,0]
	v_pk_mul_f16 v14, 0x39e9, v25 op_sel_hi:[0,1]
	v_pk_add_f16 v2, v16, v2
	v_pk_fma_f16 v15, 0xb836, v18, v15 op_sel:[0,0,1] op_sel_hi:[0,1,0]
	v_add_f16_e32 v72, v75, v45
	v_add_f16_e32 v78, v83, v78
	v_add_f16_e64 v83, v133, v84
	v_add_f16_e32 v84, v106, v96
	v_fmac_f16_e32 v108, 0xbb29, v19
	v_pk_add_f16 v44, v77, v44
	v_pk_add_f16 v5, v12, v5
	v_pk_fma_f16 v12, 0x3964, v19, v14 op_sel:[0,0,1] op_sel_hi:[0,1,0] neg_lo:[0,1,0] neg_hi:[0,1,0]
	v_pk_mul_f16 v16, 0xb8d2, v27 op_sel_hi:[0,1]
	v_pk_add_f16 v2, v15, v2
	v_pk_fma_f16 v14, 0x3964, v19, v14 op_sel:[0,0,1] op_sel_hi:[0,1,0]
	v_add_f16_e32 v72, v70, v72
	v_add_f16_e32 v84, v108, v84
	v_fmac_f16_e32 v110, 0xb1e1, v23
	v_pk_add_f16 v44, v69, v44
	v_pk_add_f16 v5, v12, v5
	v_pk_fma_f16 v12, 0xba62, v23, v16 op_sel:[0,0,1] op_sel_hi:[0,1,0] neg_lo:[0,1,0] neg_hi:[0,1,0]
	v_pk_mul_f16 v15, 0x3722, v30 op_sel_hi:[0,1]
	v_pk_add_f16 v2, v14, v2
	v_pk_fma_f16 v14, 0xba62, v23, v16 op_sel:[0,0,1] op_sel_hi:[0,1,0]
	v_add_f16_e32 v72, v46, v72
	v_add_f16_e32 v84, v110, v84
	v_fmac_f16_e32 v112, 0x3bf7, v26
	v_pk_add_f16 v44, v68, v44
	v_mul_f16_e32 v63, 0x3964, v28
	v_pk_add_f16 v5, v12, v5
	v_pk_fma_f16 v12, 0x3b29, v26, v15 op_sel:[0,0,1] op_sel_hi:[0,1,0] neg_lo:[0,1,0] neg_hi:[0,1,0]
	v_pk_mul_f16 v17, 0xb461, v31 op_sel_hi:[0,1]
	v_pk_add_f16 v2, v14, v2
	v_pk_fma_f16 v14, 0x3b29, v26, v15 op_sel:[0,0,1] op_sel_hi:[0,1,0]
	v_add_f16_e32 v72, v43, v72
	v_add_f16_e32 v84, v112, v84
	v_fmac_f16_e32 v114, 0xb5c8, v29
	v_fmac_f16_e64 v146, 0x3964, v29
	v_pk_mul_f16 v93, 0xb83635c8, v28
	v_pk_add_f16 v5, v12, v5
	v_pk_fma_f16 v12, 0xbbb2, v29, v17 op_sel:[0,0,1] op_sel_hi:[0,1,0] neg_lo:[0,1,0] neg_hi:[0,1,0]
	v_pk_mul_f16 v18, 0x2de8, v32 op_sel_hi:[0,1]
	v_pk_add_f16 v2, v14, v2
	v_pk_fma_f16 v14, 0xbbb2, v29, v17 op_sel:[0,0,1] op_sel_hi:[0,1,0]
	v_bfi_b32 v19, 0xffff, v63, v44
	v_add_f16_e32 v72, v59, v72
	v_fma_f16 v65, v32, 0x3b76, -v65
	v_add_f16_e32 v84, v114, v84
	v_fmac_f16_e32 v116, 0xba62, v28
	v_fma_f16 v137, 0x3bb2, v28, v139
	v_add_f16_e64 v81, v146, v81
	v_fmac_f16_e64 v139, 0xbbb2, v28
	v_fma_f16 v96, v32, 0x3722, -v143
	v_pk_add_f16 v5, v12, v5
	v_pk_fma_f16 v12, 0x3bf7, v28, v18 op_sel:[0,0,1] op_sel_hi:[0,1,0] neg_lo:[0,1,0] neg_hi:[0,1,0]
	v_pk_add_f16 v2, v14, v2
	v_pk_fma_f16 v14, 0x3bf7, v28, v18 op_sel:[0,0,1] op_sel_hi:[0,1,0]
	v_pack_b32_f16 v18, v91, v62
	v_bfi_b32 v6, 0xffff, v6, v93
	v_pk_add_f16 v19, v92, v19 neg_lo:[0,1] neg_hi:[0,1]
	v_pk_add_f16 v20, v61, v44
	v_add_f16_e32 v72, v67, v72
	v_add_f16_e32 v35, v65, v57
	;; [unrolled: 1-line block ×3, first 2 shown]
	v_add_f16_e64 v81, v139, v81
	v_add_f16_e32 v79, v96, v79
	v_pk_add_f16 v5, v12, v5
	v_pk_add_f16 v6, v18, v6
	v_bfi_b32 v12, 0xffff, v19, v20
	v_add_f16_e32 v72, v53, v72
	v_alignbit_b32 v13, v13, v1, 16
	v_pack_b32_f16 v1, v35, v1
	v_pack_b32_f16 v16, v82, v84
	;; [unrolled: 1-line block ×3, first 2 shown]
	v_pk_add_f16 v2, v14, v2
	v_add_f16_e64 v122, v137, v122
	v_pack_b32_f16 v17, v78, v81
	v_pack_b32_f16 v21, v79, v83
	ds_store_2addr_b32 v4, v0, v3 offset1:1
	ds_store_2addr_b32 v4, v1, v13 offset0:2 offset1:3
	ds_store_2addr_b32 v4, v15, v16 offset0:4 offset1:5
	;; [unrolled: 1-line block ×3, first 2 shown]
	v_pk_add_f16 v1, v12, v6
	v_add_f16_e32 v72, v55, v72
	v_alignbit_b32 v0, v5, v2, 16
	v_alignbit_b32 v2, v2, v5, 16
	v_pack_b32_f16 v3, v94, v85
	v_pack_b32_f16 v5, v80, v122
	;; [unrolled: 1-line block ×3, first 2 shown]
	v_alignbit_b32 v8, v8, v1, 16
	v_pack_b32_f16 v1, v7, v1
	v_pack_b32_f16 v7, v9, v72
	v_perm_b32 v9, v34, v33, 0x5040100
	ds_store_2addr_b32 v4, v2, v0 offset0:8 offset1:9
	ds_store_2addr_b32 v4, v5, v3 offset0:10 offset1:11
	ds_store_b32 v4, v6 offset:48
	ds_store_2addr_b32 v4, v1, v8 offset0:13 offset1:14
	ds_store_2addr_b32 v4, v7, v9 offset0:15 offset1:16
.LBB0_7:
	s_wait_alu 0xfffe
	s_or_b32 exec_lo, exec_lo, s0
	v_add_nc_u16 v0, v50, 0x77
	v_and_b32_e32 v3, 0xff, v50
	v_add_co_u32 v29, null, 0x165, v50
	v_add_nc_u16 v1, v50, 0xee
	s_delay_alu instid0(VALU_DEP_4) | instskip(NEXT) | instid1(VALU_DEP_4)
	v_and_b32_e32 v2, 0xff, v0
	v_mul_lo_u16 v13, 0xf1, v3
	v_add_co_u32 v35, null, 0x1dc, v50
	v_add_co_u32 v36, null, 0x253, v50
	;; [unrolled: 1-line block ×4, first 2 shown]
	v_and_b32_e32 v7, 0xffff, v29
	v_and_b32_e32 v4, 0xffff, v1
	v_mul_lo_u16 v23, 0xf1, v2
	v_lshrrev_b16 v30, 12, v13
	v_and_b32_e32 v8, 0xffff, v35
	v_and_b32_e32 v9, 0xffff, v36
	;; [unrolled: 1-line block ×3, first 2 shown]
	v_mul_u32_u24_e32 v42, 0xf0f1, v7
	v_and_b32_e32 v7, 0xffff, v41
	v_mul_u32_u24_e32 v3, 0xf0f1, v4
	v_lshrrev_b16 v31, 12, v23
	v_mul_lo_u16 v4, v30, 17
	v_mul_u32_u24_e32 v43, 0xf0f1, v8
	v_mul_u32_u24_e32 v44, 0xf0f1, v9
	;; [unrolled: 1-line block ×3, first 2 shown]
	v_lshrrev_b32_e32 v46, 20, v42
	v_mul_u32_u24_e32 v61, 0xf0f1, v7
	v_lshrrev_b32_e32 v32, 20, v3
	v_mul_lo_u16 v5, v31, 17
	v_sub_nc_u16 v4, v50, v4
	v_lshrrev_b32_e32 v62, 20, v43
	v_lshrrev_b32_e32 v63, 20, v44
	;; [unrolled: 1-line block ×3, first 2 shown]
	v_mul_lo_u16 v7, v46, 17
	v_lshrrev_b32_e32 v65, 20, v61
	v_mul_lo_u16 v6, v32, 17
	v_sub_nc_u16 v5, v0, v5
	v_and_b32_e32 v39, 0xff, v4
	v_mul_lo_u16 v8, v62, 17
	v_mul_lo_u16 v9, v63, 17
	;; [unrolled: 1-line block ×3, first 2 shown]
	v_sub_nc_u16 v66, v29, v7
	v_mul_lo_u16 v7, v65, 17
	v_sub_nc_u16 v37, v1, v6
	v_and_b32_e32 v40, 0xff, v5
	v_lshlrev_b32_e32 v5, 2, v39
	v_sub_nc_u16 v67, v35, v8
	v_sub_nc_u16 v68, v36, v9
	v_sub_nc_u16 v69, v38, v10
	v_sub_nc_u16 v70, v41, v7
	s_load_b128 s[4:7], s[4:5], 0x0
	global_wb scope:SCOPE_SE
	s_wait_dscnt 0x0
	s_wait_kmcnt 0x0
	s_barrier_signal -1
	s_barrier_wait -1
	global_inv scope:SCOPE_SE
	v_and_b32_e32 v4, 0xffff, v37
	global_load_b32 v60, v5, s[2:3]
	v_and_b32_e32 v8, 0xffff, v66
	v_and_b32_e32 v7, 0xffff, v67
	;; [unrolled: 1-line block ×3, first 2 shown]
	v_lshlrev_b32_e32 v6, 2, v40
	v_and_b32_e32 v10, 0xffff, v69
	v_and_b32_e32 v5, 0xffff, v70
	v_lshlrev_b32_e32 v4, 2, v4
	v_lshlrev_b32_e32 v8, 2, v8
	;; [unrolled: 1-line block ×6, first 2 shown]
	s_clause 0x6
	global_load_b32 v59, v6, s[2:3]
	global_load_b32 v58, v4, s[2:3]
	;; [unrolled: 1-line block ×7, first 2 shown]
	v_and_b32_e32 v4, 0xffff, v50
	v_lshrrev_b16 v77, 13, v13
	v_mul_lo_u16 v30, v30, 34
	v_lshrrev_b16 v23, 13, v23
	v_lshrrev_b32_e32 v79, 21, v61
	v_lshlrev_b32_e32 v52, 2, v4
	v_mul_lo_u16 v71, v77, 34
	v_and_b32_e32 v30, 0xfe, v30
	v_and_b32_e32 v31, 0xffff, v31
	v_lshrrev_b32_e32 v43, 21, v43
	v_add_nc_u32_e32 v10, 0xe00, v52
	v_add_nc_u32_e32 v8, 0x200, v52
	;; [unrolled: 1-line block ×5, first 2 shown]
	ds_load_2addr_b32 v[11:12], v52 offset1:119
	v_add_nc_u32_e32 v5, 0xa00, v52
	v_add_nc_u32_e32 v4, 0x1800, v52
	ds_load_2addr_b32 v[13:14], v10 offset0:56 offset1:175
	ds_load_2addr_b32 v[15:16], v8 offset0:110 offset1:229
	;; [unrolled: 1-line block ×7, first 2 shown]
	v_sub_nc_u16 v61, v50, v71
	v_mul_lo_u16 v71, v23, 34
	v_lshrrev_b32_e32 v45, 21, v45
	v_mul_lo_u16 v80, v79, 34
	v_mul_u32_u24_e32 v31, 34, v31
	v_add_lshl_u32 v91, v30, v39, 2
	v_sub_nc_u16 v71, v0, v71
	v_mad_u16 v30, v32, 34, v37
	v_mad_u16 v32, v46, 34, v66
	v_lshrrev_b32_e32 v78, 21, v3
	v_mul_lo_u16 v74, v43, 34
	v_mul_lo_u16 v76, v45, 34
	v_sub_nc_u16 v41, v41, v80
	v_mad_u16 v37, v62, 34, v67
	v_mad_u16 v39, v63, 34, v68
	;; [unrolled: 1-line block ×4, first 2 shown]
	v_and_b32_e32 v80, 0xff, v71
	s_wait_dscnt 0x6
	v_lshrrev_b32_e32 v71, 16, v13
	v_add_lshl_u32 v92, v31, v40, 2
	v_and_b32_e32 v30, 0xffff, v30
	v_and_b32_e32 v31, 0xffff, v32
	v_lshrrev_b32_e32 v42, 21, v42
	v_lshrrev_b32_e32 v44, 21, v44
	v_mul_lo_u16 v72, v78, 34
	v_sub_nc_u16 v35, v35, v74
	v_sub_nc_u16 v38, v38, v76
	v_lshrrev_b32_e32 v74, 16, v14
	s_wait_dscnt 0x4
	v_lshrrev_b32_e32 v76, 16, v17
	v_lshrrev_b32_e32 v84, 16, v18
	v_and_b32_e32 v32, 0xffff, v37
	v_and_b32_e32 v37, 0xffff, v39
	;; [unrolled: 1-line block ×4, first 2 shown]
	v_lshlrev_b32_e32 v47, 2, v30
	v_lshlrev_b32_e32 v49, 2, v31
	s_wait_dscnt 0x2
	v_lshrrev_b32_e32 v94, 16, v21
	v_lshrrev_b32_e32 v96, 16, v22
	s_wait_dscnt 0x0
	v_lshrrev_b32_e32 v98, 16, v27
	v_lshrrev_b32_e32 v100, 16, v28
	v_mul_lo_u16 v73, v42, 34
	v_mul_lo_u16 v75, v44, 34
	v_sub_nc_u16 v82, v1, v72
	v_lshrrev_b32_e32 v72, 16, v11
	v_lshlrev_b32_e32 v248, 2, v32
	v_lshlrev_b32_e32 v129, 2, v37
	;; [unrolled: 1-line block ×4, first 2 shown]
	v_sub_nc_u16 v29, v29, v73
	v_sub_nc_u16 v36, v36, v75
	v_lshrrev_b32_e32 v73, 16, v12
	v_lshrrev_b32_e32 v75, 16, v15
	;; [unrolled: 1-line block ×7, first 2 shown]
	v_and_b32_e32 v81, 0xff, v61
	v_and_b32_e32 v64, 0xffff, v82
	;; [unrolled: 1-line block ×5, first 2 shown]
	v_lshlrev_b32_e32 v68, 2, v81
	v_and_b32_e32 v67, 0xffff, v36
	v_and_b32_e32 v70, 0xffff, v41
	global_wb scope:SCOPE_SE
	s_wait_loadcnt 0x0
	s_barrier_signal -1
	s_barrier_wait -1
	global_inv scope:SCOPE_SE
	v_lshlrev_b32_e32 v46, 2, v80
	v_lshlrev_b32_e32 v101, 2, v64
	;; [unrolled: 1-line block ×7, first 2 shown]
	s_clause 0x1
	scratch_store_b32 off, v47, off offset:4
	scratch_store_b32 off, v49, off
	v_cmp_gt_u16_e64 s0, 34, v50
	v_lshrrev_b32_e32 v87, 16, v60
	s_delay_alu instid0(VALU_DEP_1)
	v_mul_f16_e32 v30, v71, v87
	v_mul_f16_e32 v31, v13, v87
	v_lshrrev_b32_e32 v252, 16, v59
	v_lshrrev_b32_e32 v90, 16, v58
	;; [unrolled: 1-line block ×7, first 2 shown]
	v_fma_f16 v13, v13, v60, -v30
	v_fmac_f16_e32 v31, v71, v60
	v_mul_f16_e64 v30, v74, v252
	v_mul_f16_e64 v32, v14, v252
	v_mul_f16_e32 v37, v76, v90
	v_mul_f16_e32 v39, v17, v90
	v_mul_f16_e64 v40, v84, v251
	v_mul_f16_e64 v71, v18, v251
	;; [unrolled: 1-line block ×10, first 2 shown]
	v_fma_f16 v14, v14, v59, -v30
	v_fmac_f16_e32 v32, v74, v59
	v_fma_f16 v17, v17, v58, -v37
	v_fmac_f16_e32 v39, v76, v58
	;; [unrolled: 2-line block ×3, first 2 shown]
	v_sub_f16_e32 v13, v11, v13
	v_sub_f16_e32 v30, v72, v31
	v_fma_f16 v21, v21, v56, -v106
	v_fmac_f16_e32 v107, v94, v56
	v_fma_f16 v22, v22, v55, -v108
	v_fmac_f16_e32 v109, v96, v55
	;; [unrolled: 2-line block ×4, first 2 shown]
	v_fma_f16 v11, v11, 2.0, -v13
	v_fma_f16 v31, v72, 2.0, -v30
	v_sub_f16_e32 v14, v12, v14
	v_sub_f16_e32 v32, v73, v32
	;; [unrolled: 1-line block ×14, first 2 shown]
	v_pack_b32_f16 v13, v13, v30
	v_fma_f16 v12, v12, 2.0, -v14
	v_fma_f16 v30, v73, 2.0, -v32
	;; [unrolled: 1-line block ×6, first 2 shown]
	v_pack_b32_f16 v11, v11, v31
	v_fma_f16 v19, v19, 2.0, -v21
	v_fma_f16 v76, v93, 2.0, -v40
	;; [unrolled: 1-line block ×8, first 2 shown]
	v_pack_b32_f16 v14, v14, v32
	v_pack_b32_f16 v17, v17, v37
	;; [unrolled: 1-line block ×3, first 2 shown]
	ds_store_2addr_b32 v91, v11, v13 offset1:17
	v_pack_b32_f16 v11, v12, v30
	v_pack_b32_f16 v12, v15, v73
	;; [unrolled: 1-line block ×11, first 2 shown]
	ds_store_2addr_b32 v92, v11, v14 offset1:17
	ds_store_2addr_b32 v47, v12, v17 offset1:17
	;; [unrolled: 1-line block ×7, first 2 shown]
	global_wb scope:SCOPE_SE
	s_wait_storecnt_dscnt 0x0
	s_barrier_signal -1
	s_barrier_wait -1
	global_inv scope:SCOPE_SE
	s_clause 0x7
	global_load_b32 v76, v68, s[2:3] offset:68
	global_load_b32 v75, v46, s[2:3] offset:68
	;; [unrolled: 1-line block ×8, first 2 shown]
	v_mul_lo_u16 v11, 0x44, v77
	v_and_b32_e32 v12, 0xffff, v23
	v_mad_u16 v13, 0x44, v42, v29
	v_mad_u16 v14, 0x44, v43, v35
	;; [unrolled: 1-line block ×3, first 2 shown]
	v_and_b32_e32 v11, 0xfc, v11
	v_mul_u32_u24_e32 v12, 0x44, v12
	v_mad_u16 v16, 0x44, v45, v38
	v_mad_u16 v17, 0x44, v79, v41
	v_and_b32_e32 v19, 0xffff, v13
	v_add_lshl_u32 v94, v11, v81, 2
	v_mad_u16 v11, 0x44, v78, v82
	v_and_b32_e32 v20, 0xffff, v14
	v_and_b32_e32 v21, 0xffff, v15
	v_add_lshl_u32 v98, v12, v80, 2
	v_and_b32_e32 v23, 0xffff, v17
	v_and_b32_e32 v18, 0xffff, v11
	ds_load_2addr_b32 v[11:12], v52 offset1:119
	ds_load_2addr_b32 v[13:14], v10 offset0:56 offset1:175
	v_and_b32_e32 v10, 0xffff, v16
	ds_load_2addr_b32 v[15:16], v8 offset0:110 offset1:229
	ds_load_2addr_b32 v[8:9], v9 offset0:38 offset1:157
	v_lshlrev_b32_e32 v95, 2, v19
	v_lshlrev_b32_e32 v101, 2, v18
	ds_load_2addr_b32 v[17:18], v6 offset0:92 offset1:211
	ds_load_2addr_b32 v[6:7], v7 offset0:20 offset1:139
	v_lshlrev_b32_e32 v96, 2, v20
	v_lshlrev_b32_e32 v97, 2, v21
	;; [unrolled: 4-line block ×3, first 2 shown]
	v_add_nc_u32_e32 v25, 0x400, v52
	v_add_nc_u32_e32 v26, 0x800, v52
	;; [unrolled: 1-line block ×5, first 2 shown]
	global_wb scope:SCOPE_SE
	s_wait_loadcnt_dscnt 0x0
	s_barrier_signal -1
	s_barrier_wait -1
	v_lshrrev_b32_e32 v5, 16, v11
	v_lshrrev_b32_e32 v10, 16, v13
	;; [unrolled: 1-line block ×16, first 2 shown]
	global_inv scope:SCOPE_SE
	v_lshrrev_b32_e32 v46, 16, v76
	v_lshrrev_b32_e32 v61, 16, v75
	;; [unrolled: 1-line block ×8, first 2 shown]
	v_mul_f16_e32 v45, v10, v46
	v_mul_f16_e32 v46, v13, v46
	;; [unrolled: 1-line block ×10, first 2 shown]
	v_mul_f16_e64 v109, v38, v255
	v_mul_f16_e64 v110, v7, v255
	;; [unrolled: 1-line block ×6, first 2 shown]
	v_fma_f16 v13, v13, v76, -v45
	v_fmac_f16_e32 v46, v10, v76
	v_fma_f16 v10, v14, v75, -v93
	v_fmac_f16_e32 v102, v29, v75
	;; [unrolled: 2-line block ×8, first 2 shown]
	v_sub_f16_e32 v13, v11, v13
	v_sub_f16_e32 v22, v5, v46
	;; [unrolled: 1-line block ×16, first 2 shown]
	v_fma_f16 v11, v11, 2.0, -v13
	v_fma_f16 v5, v5, 2.0, -v22
	;; [unrolled: 1-line block ×16, first 2 shown]
	v_pack_b32_f16 v13, v13, v22
	v_pack_b32_f16 v5, v11, v5
	;; [unrolled: 1-line block ×16, first 2 shown]
	ds_store_2addr_b32 v94, v5, v13 offset1:34
	ds_store_2addr_b32 v98, v11, v10 offset1:34
	;; [unrolled: 1-line block ×8, first 2 shown]
	global_wb scope:SCOPE_SE
	s_wait_dscnt 0x0
	s_barrier_signal -1
	s_barrier_wait -1
	global_inv scope:SCOPE_SE
	ds_load_2addr_b32 v[12:13], v52 offset1:119
	ds_load_2addr_b32 v[31:32], v25 offset0:16 offset1:135
	ds_load_2addr_b32 v[22:23], v26 offset0:32 offset1:151
	;; [unrolled: 1-line block ×6, first 2 shown]
                                        ; implicit-def: $vgpr39
                                        ; implicit-def: $vgpr43
                                        ; implicit-def: $vgpr40
                                        ; implicit-def: $vgpr44
                                        ; implicit-def: $vgpr42
                                        ; implicit-def: $vgpr45
                                        ; implicit-def: $vgpr41
                                        ; implicit-def: $vgpr46
	s_and_saveexec_b32 s1, s0
	s_cbranch_execz .LBB0_9
; %bb.8:
	ds_load_b32 v35, v52 offset:952
	ds_load_b32 v37, v52 offset:2040
	;; [unrolled: 1-line block ×7, first 2 shown]
	s_wait_dscnt 0x6
	v_lshrrev_b32_e32 v36, 16, v35
	s_wait_dscnt 0x5
	v_lshrrev_b32_e32 v38, 16, v37
	;; [unrolled: 2-line block ×7, first 2 shown]
.LBB0_9:
	s_wait_alu 0xfffe
	s_or_b32 exec_lo, exec_lo, s1
	v_add_nc_u32_e32 v4, 0xffffffbc, v50
	v_cmp_gt_u16_e64 s1, 0x44, v50
	v_lshrrev_b32_e32 v3, 22, v3
	v_mul_lo_u16 v2, 0x79, v2
	s_wait_dscnt 0x5
	v_lshrrev_b32_e32 v105, 16, v31
	s_wait_dscnt 0x4
	v_lshrrev_b32_e32 v108, 16, v22
	s_wait_alu 0xf1ff
	v_cndmask_b32_e64 v93, v4, v50, s1
	v_mul_lo_u16 v3, 0x44, v3
	v_lshrrev_b16 v102, 13, v2
	s_wait_dscnt 0x3
	v_lshrrev_b32_e32 v109, 16, v20
	s_wait_dscnt 0x2
	v_lshrrev_b32_e32 v111, 16, v18
	v_mul_i32_i24_e32 v4, 24, v93
	v_sub_nc_u16 v103, v1, v3
	v_mul_lo_u16 v1, 0x44, v102
	v_mul_hi_i32_i24_e32 v5, 24, v93
	v_and_b32_e32 v102, 0xffff, v102
	v_add_co_u32 v4, s1, s2, v4
	v_mul_lo_u16 v2, v103, 24
	v_sub_nc_u16 v0, v0, v1
	s_wait_alu 0xf1ff
	v_add_co_ci_u32_e64 v5, s1, s3, v5, s1
	s_wait_dscnt 0x1
	v_lshrrev_b32_e32 v112, 16, v16
	v_and_b32_e32 v1, 0xffff, v2
	v_and_b32_e32 v104, 0xff, v0
	s_clause 0x1
	global_load_b128 v[8:11], v[4:5], off offset:204
	global_load_b64 v[27:28], v[4:5], off offset:220
	s_wait_dscnt 0x0
	v_lshrrev_b32_e32 v113, 16, v14
	v_add_co_u32 v4, s1, s2, v1
	v_mad_co_u64_u32 v[29:30], null, v104, 24, s[2:3]
	s_wait_alu 0xf1ff
	v_add_co_ci_u32_e64 v5, null, s3, 0, s1
	s_clause 0x3
	global_load_b128 v[0:3], v[4:5], off offset:204
	global_load_b64 v[25:26], v[4:5], off offset:220
	global_load_b128 v[4:7], v[29:30], off offset:204
	global_load_b64 v[29:30], v[29:30], off offset:220
	v_cmp_lt_u16_e64 s1, 0x43, v50
	v_mul_u32_u24_e32 v102, 0x1dc, v102
	v_lshrrev_b32_e32 v115, 16, v32
	v_lshrrev_b32_e32 v116, 16, v23
	;; [unrolled: 1-line block ×3, first 2 shown]
	s_wait_alu 0xf1ff
	v_cndmask_b32_e64 v106, 0, 0x1dc, s1
	v_lshrrev_b32_e32 v120, 16, v15
	v_lshrrev_b32_e32 v117, 16, v21
	;; [unrolled: 1-line block ×4, first 2 shown]
	v_add_lshl_u32 v107, v93, v106, 2
	v_add_lshl_u32 v106, v102, v104, 2
	v_and_b32_e32 v93, 0xffff, v103
	v_lshrrev_b32_e32 v114, 16, v13
	global_wb scope:SCOPE_SE
	s_wait_loadcnt 0x0
	v_add_nc_u32_e32 v121, 0x400, v107
	s_barrier_signal -1
	s_barrier_wait -1
	global_inv scope:SCOPE_SE
	v_add_nc_u32_e32 v144, 0x400, v106
	v_lshrrev_b32_e32 v62, 16, v8
	v_lshrrev_b32_e32 v61, 16, v9
	;; [unrolled: 1-line block ×6, first 2 shown]
	v_mul_f16_e32 v102, v105, v62
	v_mul_f16_e32 v125, v31, v62
	;; [unrolled: 1-line block ×3, first 2 shown]
	v_mul_f16_e64 v128, v22, v61
	v_mul_f16_e32 v104, v109, v51
	v_mul_f16_e64 v131, v20, v51
	v_mul_f16_e32 v122, v111, v49
	;; [unrolled: 2-line block ×3, first 2 shown]
	v_mul_f16_e64 v135, v16, v47
	v_mul_f16_e64 v127, v113, v138
	;; [unrolled: 1-line block ×3, first 2 shown]
	v_fma_f16 v31, v31, v8, -v102
	v_fmac_f16_e32 v125, v105, v8
	v_fma_f16 v22, v22, v9, -v103
	v_fmac_f16_e64 v128, v108, v9
	v_fma_f16 v20, v20, v10, -v104
	v_fmac_f16_e64 v131, v109, v10
	;; [unrolled: 2-line block ×5, first 2 shown]
	v_lshrrev_b32_e32 v108, 16, v0
	v_lshrrev_b32_e32 v104, 16, v1
	;; [unrolled: 1-line block ×12, first 2 shown]
	v_mul_f16_e32 v111, v38, v108
	v_mul_f16_e32 v112, v37, v108
	;; [unrolled: 1-line block ×3, first 2 shown]
	v_mul_f16_e64 v140, v33, v104
	v_mul_f16_e64 v141, v43, v102
	;; [unrolled: 1-line block ×9, first 2 shown]
	v_add_f16_e64 v150, v31, v14
	v_add_f16_e64 v151, v125, v137
	v_sub_f16_e32 v14, v31, v14
	v_sub_f16_e64 v31, v125, v137
	v_add_f16_e32 v125, v22, v16
	v_add_f16_e64 v137, v128, v135
	v_sub_f16_e32 v16, v22, v16
	v_sub_f16_e64 v22, v128, v135
	v_add_f16_e64 v128, v20, v18
	v_add_f16_e64 v135, v131, v133
	v_sub_f16_e32 v18, v18, v20
	v_sub_f16_e64 v20, v133, v131
	v_mul_f16_e64 v131, v115, v51
	v_mul_f16_e64 v133, v32, v51
	;; [unrolled: 1-line block ×12, first 2 shown]
	v_fma_f16 v37, v37, v0, -v111
	v_fmac_f16_e32 v112, v38, v0
	v_fma_f16 v33, v33, v1, -v113
	v_fmac_f16_e64 v140, v34, v1
	v_fma_f16 v34, v39, v2, -v141
	v_fmac_f16_e64 v142, v43, v2
	v_fma_f16 v38, v41, v3, -v143
	v_fmac_f16_e64 v145, v46, v3
	v_fma_f16 v39, v40, v25, -v146
	v_fmac_f16_e64 v147, v44, v25
	v_fma_f16 v40, v42, v26, -v148
	v_fmac_f16_e64 v149, v45, v26
	v_add_f16_e64 v41, v125, v150
	v_add_f16_e64 v42, v137, v151
	v_sub_f16_e64 v43, v125, v150
	v_sub_f16_e64 v44, v137, v151
	;; [unrolled: 1-line block ×6, first 2 shown]
	v_add_f16_e32 v125, v18, v16
	v_add_f16_e64 v137, v20, v22
	v_sub_f16_e64 v141, v18, v16
	v_sub_f16_e64 v143, v20, v22
	v_sub_f16_e32 v16, v16, v14
	v_sub_f16_e32 v22, v22, v31
	v_fma_f16 v32, v32, v4, -v131
	v_fmac_f16_e64 v133, v115, v4
	v_fma_f16 v23, v23, v5, -v152
	v_fmac_f16_e64 v153, v116, v5
	;; [unrolled: 2-line block ×4, first 2 shown]
	v_sub_f16_e32 v18, v14, v18
	v_sub_f16_e32 v20, v31, v20
	v_fma_f16 v21, v21, v6, -v154
	v_fmac_f16_e64 v155, v117, v6
	v_fma_f16 v19, v19, v7, -v156
	v_fmac_f16_e64 v157, v118, v7
	v_add_f16_e64 v41, v128, v41
	v_add_f16_e64 v42, v135, v42
	v_add_f16_e32 v14, v125, v14
	v_add_f16_e64 v31, v137, v31
	v_mul_f16_e32 v45, 0x3a52, v45
	v_mul_f16_e32 v46, 0x3a52, v46
	;; [unrolled: 1-line block ×4, first 2 shown]
	v_mul_f16_e64 v117, 0xb846, v141
	v_mul_f16_e64 v118, 0xb846, v143
	v_mul_f16_e32 v119, 0x3b00, v16
	v_mul_f16_e32 v120, 0x3b00, v22
	v_add_f16_e32 v125, v37, v40
	v_add_f16_e64 v128, v112, v149
	v_sub_f16_e32 v37, v37, v40
	v_sub_f16_e64 v40, v112, v149
	v_add_f16_e32 v112, v33, v39
	v_add_f16_e64 v131, v140, v147
	v_sub_f16_e32 v33, v33, v39
	v_sub_f16_e64 v39, v140, v147
	v_add_f16_e64 v135, v34, v38
	v_add_f16_e64 v137, v142, v145
	v_sub_f16_e32 v34, v38, v34
	v_sub_f16_e64 v38, v145, v142
	v_add_f16_e64 v140, v32, v15
	;; [unrolled: 4-line block ×4, first 2 shown]
	v_add_f16_e64 v145, v155, v157
	v_sub_f16_e32 v19, v19, v21
	v_sub_f16_e64 v21, v157, v155
	v_add_f16_e32 v12, v12, v41
	v_add_f16_e32 v110, v110, v42
	v_fmamk_f16 v111, v111, 0x2b26, v45
	v_fmamk_f16 v113, v113, 0x2b26, v46
	v_fma_f16 v115, v43, 0x39e0, -v115
	v_fma_f16 v116, v44, 0x39e0, -v116
	;; [unrolled: 1-line block ×4, first 2 shown]
	v_fmamk_f16 v45, v18, 0x3574, v117
	v_fmamk_f16 v46, v20, 0x3574, v118
	v_fma_f16 v117, v16, 0x3b00, -v117
	v_fma_f16 v22, v22, 0x3b00, -v118
	;; [unrolled: 1-line block ×4, first 2 shown]
	v_add_f16_e32 v16, v112, v125
	v_add_f16_e64 v118, v131, v128
	v_sub_f16_e32 v119, v112, v125
	v_sub_f16_e64 v125, v125, v135
	v_add_f16_e64 v146, v34, v33
	v_add_f16_e64 v147, v38, v39
	v_sub_f16_e64 v148, v34, v33
	v_sub_f16_e64 v149, v38, v39
	v_sub_f16_e32 v33, v33, v37
	v_sub_f16_e32 v39, v39, v40
	v_add_f16_e64 v150, v133, v140
	v_add_f16_e64 v151, v142, v141
	v_sub_f16_e64 v120, v131, v128
	v_sub_f16_e64 v128, v128, v137
	;; [unrolled: 1-line block ×4, first 2 shown]
	v_sub_f16_e32 v34, v37, v34
	v_sub_f16_e32 v38, v40, v38
	v_sub_f16_e64 v152, v133, v140
	v_sub_f16_e64 v153, v142, v141
	;; [unrolled: 1-line block ×6, first 2 shown]
	v_add_f16_e64 v154, v19, v17
	v_add_f16_e64 v155, v21, v23
	v_sub_f16_e64 v156, v19, v17
	v_sub_f16_e64 v157, v21, v23
	v_fmamk_f16 v41, v41, 0xbcab, v12
	v_fmamk_f16 v42, v42, 0xbcab, v110
	v_fmac_f16_e32 v46, 0x370e, v31
	v_fmac_f16_e32 v22, 0x370e, v31
	;; [unrolled: 1-line block ×3, first 2 shown]
	v_add_f16_e64 v31, v135, v16
	v_add_f16_e64 v118, v137, v118
	;; [unrolled: 1-line block ×4, first 2 shown]
	v_mul_f16_e32 v16, 0x3a52, v125
	v_mul_f16_e64 v137, 0xb846, v148
	v_mul_f16_e64 v146, 0xb846, v149
	;; [unrolled: 1-line block ×4, first 2 shown]
	v_add_f16_e64 v143, v143, v150
	v_add_f16_e64 v145, v145, v151
	v_sub_f16_e32 v17, v17, v15
	v_sub_f16_e32 v23, v23, v32
	;; [unrolled: 1-line block ×4, first 2 shown]
	v_fmac_f16_e32 v45, 0x370e, v14
	v_fmac_f16_e32 v117, 0x370e, v14
	;; [unrolled: 1-line block ×3, first 2 shown]
	v_mul_f16_e64 v125, 0x3a52, v128
	v_mul_f16_e64 v128, 0x2b26, v112
	;; [unrolled: 1-line block ×3, first 2 shown]
	v_pack_b32_f16 v110, v12, v110
	v_add_f16_e64 v149, v154, v15
	v_add_f16_e64 v32, v155, v32
	v_mul_f16_e64 v140, 0x3a52, v140
	v_mul_f16_e64 v141, 0x3a52, v141
	;; [unrolled: 1-line block ×4, first 2 shown]
	v_add_f16_e32 v111, v111, v41
	v_add_f16_e32 v113, v113, v42
	;; [unrolled: 1-line block ×8, first 2 shown]
	v_fmamk_f16 v35, v112, 0x2b26, v16
	v_fma_f16 v112, v119, 0xb9e0, -v16
	v_fma_f16 v15, 0x3574, v34, v137
	v_fma_f16 v16, 0x3574, v38, v146
	v_fma_f16 v33, v33, 0x3b00, -v137
	v_fma_f16 v39, v39, 0x3b00, -v146
	;; [unrolled: 1-line block ×4, first 2 shown]
	v_add_f16_e64 v13, v13, v143
	v_add_f16_e64 v114, v114, v145
	v_mul_f16_e64 v150, 0x2b26, v133
	v_mul_f16_e64 v151, 0x2b26, v142
	;; [unrolled: 1-line block ×4, first 2 shown]
	v_fma_f16 v36, 0x2b26, v131, v125
	v_fma_f16 v43, v119, 0x39e0, -v128
	v_fma_f16 v44, v120, 0x39e0, -v135
	;; [unrolled: 1-line block ×3, first 2 shown]
	v_fma_f16 v120, 0x2b26, v133, v140
	v_fma_f16 v125, 0x2b26, v142, v141
	v_fma_f16 v133, v152, 0xb9e0, -v140
	v_fma_f16 v135, v153, 0xb9e0, -v141
	v_fma_f16 v146, 0x3574, v19, v154
	v_fma_f16 v147, 0x3574, v21, v155
	v_add_f16_e64 v137, v46, v111
	v_sub_f16_e64 v140, v113, v45
	v_add_f16_e64 v141, v20, v41
	v_sub_f16_e64 v142, v42, v18
	v_sub_f16_e32 v20, v41, v20
	v_add_f16_e32 v18, v18, v42
	v_sub_f16_e32 v41, v111, v46
	v_add_f16_e32 v42, v45, v113
	v_fmamk_f16 v45, v118, 0xbcab, v14
	v_fmac_f16_e32 v15, 0x370e, v37
	v_fmac_f16_e32 v16, 0x370e, v40
	;; [unrolled: 1-line block ×6, first 2 shown]
	v_fma_f16 v37, 0xbcab, v143, v13
	v_fma_f16 v40, 0xbcab, v145, v114
	v_fma_f16 v128, v152, 0x39e0, -v150
	v_fma_f16 v131, v153, 0x39e0, -v151
	;; [unrolled: 1-line block ×6, first 2 shown]
	v_sub_f16_e64 v150, v115, v22
	v_add_f16_e64 v151, v117, v116
	v_fmamk_f16 v31, v31, 0xbcab, v12
	v_add_f16_e32 v22, v22, v115
	v_sub_f16_e32 v115, v116, v117
	v_fmac_f16_e64 v146, 0x370e, v149
	v_fmac_f16_e64 v147, 0x370e, v32
	v_add_f16_e32 v17, v36, v45
	v_add_f16_e32 v36, v44, v45
	v_pack_b32_f16 v44, v137, v140
	v_pack_b32_f16 v18, v20, v18
	;; [unrolled: 1-line block ×3, first 2 shown]
	v_add_f16_e32 v41, v120, v37
	v_add_f16_e32 v42, v125, v40
	v_fmac_f16_e64 v148, 0x370e, v149
	v_fmac_f16_e32 v23, 0x370e, v32
	v_fmac_f16_e64 v19, 0x370e, v149
	v_fmac_f16_e32 v21, 0x370e, v32
	v_pack_b32_f16 v32, v13, v114
	v_add_f16_e32 v13, v35, v31
	v_add_f16_e32 v35, v43, v31
	;; [unrolled: 1-line block ×4, first 2 shown]
	v_pack_b32_f16 v45, v141, v142
	v_pack_b32_f16 v46, v150, v151
	v_add_f16_e64 v111, v128, v37
	v_add_f16_e64 v112, v131, v40
	v_add_f16_e64 v37, v133, v37
	v_add_f16_e64 v40, v135, v40
	v_pack_b32_f16 v22, v22, v115
	ds_store_2addr_b32 v107, v110, v44 offset1:68
	ds_store_2addr_b32 v107, v45, v46 offset0:136 offset1:204
	ds_store_2addr_b32 v121, v22, v18 offset0:16 offset1:84
	v_add_f16_e64 v18, v147, v41
	v_sub_f16_e64 v22, v42, v146
	v_add_f16_e64 v142, v38, v31
	v_sub_f16_e32 v47, v43, v34
	v_sub_f16_e32 v125, v35, v39
	v_add_f16_e64 v131, v33, v36
	v_add_f16_e64 v128, v39, v35
	v_sub_f16_e64 v133, v36, v33
	v_sub_f16_e64 v135, v31, v38
	v_add_f16_e64 v137, v34, v43
	v_add_f16_e32 v31, v21, v37
	v_sub_f16_e32 v33, v40, v19
	v_sub_f16_e32 v34, v111, v23
	v_add_f16_e64 v35, v148, v112
	v_add_f16_e32 v23, v23, v111
	v_sub_f16_e64 v36, v112, v148
	v_sub_f16_e32 v21, v37, v21
	v_add_f16_e32 v19, v19, v40
	v_sub_f16_e64 v37, v41, v147
	v_add_f16_e64 v38, v146, v42
	v_sub_f16_e64 v140, v13, v16
	v_add_f16_e32 v123, v15, v17
	v_pack_b32_f16 v18, v18, v22
	v_pack_b32_f16 v22, v31, v33
	;; [unrolled: 1-line block ×6, first 2 shown]
	ds_store_b32 v107, v20 offset:1632
	ds_store_2addr_b32 v106, v32, v18 offset1:68
	ds_store_2addr_b32 v106, v22, v31 offset0:136 offset1:204
	ds_store_2addr_b32 v144, v23, v19 offset0:16 offset1:84
	ds_store_b32 v106, v21 offset:1632
	s_and_saveexec_b32 s1, s0
	s_cbranch_execz .LBB0_11
; %bb.10:
	v_sub_f16_e32 v15, v17, v15
	v_add_f16_e32 v13, v16, v13
	v_lshlrev_b32_e32 v16, 2, v93
	v_perm_b32 v12, v14, v12, 0x5040100
	v_perm_b32 v17, v131, v125, 0x5040100
	;; [unrolled: 1-line block ×3, first 2 shown]
	v_pack_b32_f16 v13, v13, v15
	v_add_nc_u32_e32 v14, 0x1400, v16
	v_perm_b32 v15, v47, v142, 0x5040100
	v_add_nc_u32_e32 v18, 0x1800, v16
	v_perm_b32 v20, v137, v135, 0x5040100
	v_perm_b32 v21, v123, v140, 0x5040100
	ds_store_2addr_b32 v14, v12, v13 offset0:148 offset1:216
	ds_store_2addr_b32 v18, v15, v17 offset0:28 offset1:96
	;; [unrolled: 1-line block ×3, first 2 shown]
	ds_store_b32 v16, v21 offset:7344
.LBB0_11:
	s_wait_alu 0xfffe
	s_or_b32 exec_lo, exec_lo, s1
	v_mad_co_u64_u32 v[12:13], null, v50, 12, s[2:3]
	global_wb scope:SCOPE_SE
	s_wait_dscnt 0x0
	s_barrier_signal -1
	s_barrier_wait -1
	global_inv scope:SCOPE_SE
	v_add_nc_u32_e32 v162, 0x600, v52
	v_add_nc_u32_e32 v163, 0xe00, v52
	s_clause 0x3
	global_load_b96 v[18:20], v[12:13], off offset:1836
	global_load_b96 v[21:23], v[12:13], off offset:3264
	global_load_b96 v[15:17], v[12:13], off offset:4692
	global_load_b96 v[12:14], v[12:13], off offset:6120
	v_add_nc_u32_e32 v165, 0x200, v52
	v_add_nc_u32_e32 v164, 0x1600, v52
	;; [unrolled: 1-line block ×5, first 2 shown]
	ds_load_2addr_b32 v[31:32], v52 offset1:119
	ds_load_2addr_b32 v[33:34], v162 offset0:92 offset1:211
	ds_load_2addr_b32 v[35:36], v163 offset0:56 offset1:175
	ds_load_2addr_b32 v[37:38], v164 offset0:20 offset1:139
	ds_load_2addr_b32 v[40:41], v165 offset0:110 offset1:229
	ds_load_2addr_b32 v[42:43], v166 offset0:74 offset1:193
	ds_load_2addr_b32 v[44:45], v167 offset0:38 offset1:157
	ds_load_2addr_b32 v[144:145], v168 offset0:130 offset1:249
	s_wait_dscnt 0x3
	v_lshrrev_b32_e32 v152, 16, v40
	v_lshrrev_b32_e32 v146, 16, v33
	;; [unrolled: 1-line block ×7, first 2 shown]
	s_wait_dscnt 0x2
	v_lshrrev_b32_e32 v153, 16, v42
	s_wait_dscnt 0x1
	v_lshrrev_b32_e32 v154, 16, v44
	;; [unrolled: 2-line block ×3, first 2 shown]
	v_lshrrev_b32_e32 v157, 16, v43
	v_lshrrev_b32_e32 v158, 16, v45
	;; [unrolled: 1-line block ×6, first 2 shown]
	s_wait_loadcnt 0x3
	v_lshrrev_b32_e32 v121, 16, v18
	v_lshrrev_b32_e32 v120, 16, v19
	v_lshrrev_b32_e32 v119, 16, v20
	s_wait_loadcnt 0x2
	v_lshrrev_b32_e32 v118, 16, v21
	v_lshrrev_b32_e32 v117, 16, v22
	v_lshrrev_b32_e32 v116, 16, v23
	;; [unrolled: 4-line block ×4, first 2 shown]
	v_mul_f16_e64 v160, v146, v121
	v_mul_f16_e64 v161, v33, v121
	;; [unrolled: 1-line block ×24, first 2 shown]
	v_fma_f16 v33, v33, v18, -v160
	v_fmac_f16_e64 v161, v146, v18
	v_fma_f16 v35, v35, v19, -v169
	v_fmac_f16_e64 v170, v147, v19
	;; [unrolled: 2-line block ×12, first 2 shown]
	v_sub_f16_e64 v148, v31, v35
	v_sub_f16_e64 v150, v39, v170
	v_sub_f16_e32 v35, v33, v37
	v_sub_f16_e64 v37, v161, v172
	v_sub_f16_e64 v153, v32, v36
	;; [unrolled: 1-line block ×9, first 2 shown]
	v_sub_f16_e32 v45, v41, v45
	v_sub_f16_e64 v160, v156, v188
	v_sub_f16_e64 v145, v43, v145
	;; [unrolled: 1-line block ×3, first 2 shown]
	v_fma_f16 v31, v31, 2.0, -v148
	v_fma_f16 v169, v39, 2.0, -v150
	;; [unrolled: 1-line block ×4, first 2 shown]
	v_sub_f16_e64 v36, v148, v37
	v_fma_f16 v161, v32, 2.0, -v153
	v_fma_f16 v170, v46, 2.0, -v155
	;; [unrolled: 1-line block ×4, first 2 shown]
	v_add_f16_e64 v151, v150, v35
	v_sub_f16_e64 v38, v153, v38
	v_add_f16_e64 v149, v155, v146
	v_fma_f16 v171, v40, 2.0, -v158
	v_fma_f16 v172, v152, 2.0, -v159
	;; [unrolled: 1-line block ×4, first 2 shown]
	v_sub_f16_e64 v40, v158, v144
	v_fma_f16 v41, v41, 2.0, -v45
	v_fma_f16 v144, v156, 2.0, -v160
	;; [unrolled: 1-line block ×4, first 2 shown]
	v_add_f16_e64 v147, v159, v44
	v_sub_f16_e64 v34, v45, v154
	v_add_f16_e64 v146, v160, v145
	v_sub_f16_e32 v35, v31, v33
	v_sub_f16_e64 v156, v169, v39
	v_sub_f16_e64 v37, v161, v37
	;; [unrolled: 1-line block ×3, first 2 shown]
	v_fma_f16 v32, v148, 2.0, -v36
	v_fma_f16 v157, v150, 2.0, -v151
	;; [unrolled: 1-line block ×4, first 2 shown]
	v_sub_f16_e64 v39, v171, v42
	v_sub_f16_e64 v152, v172, v152
	v_sub_f16_e32 v33, v41, v43
	v_sub_f16_e64 v148, v144, v173
	v_fma_f16 v46, v158, 2.0, -v40
	v_fma_f16 v153, v159, 2.0, -v147
	;; [unrolled: 1-line block ×4, first 2 shown]
	v_pack_b32_f16 v145, v36, v151
	v_pack_b32_f16 v173, v38, v149
	;; [unrolled: 1-line block ×4, first 2 shown]
	v_fma_f16 v31, v31, 2.0, -v35
	v_fma_f16 v160, v169, 2.0, -v156
	;; [unrolled: 1-line block ×8, first 2 shown]
	v_pack_b32_f16 v144, v32, v157
	v_pack_b32_f16 v170, v44, v155
	;; [unrolled: 1-line block ×4, first 2 shown]
	ds_store_2addr_b32 v164, v145, v173 offset0:20 offset1:139
	v_pack_b32_f16 v145, v46, v153
	v_pack_b32_f16 v172, v42, v150
	;; [unrolled: 1-line block ×4, first 2 shown]
	ds_store_2addr_b32 v168, v174, v175 offset0:130 offset1:249
	v_pack_b32_f16 v168, v31, v160
	v_pack_b32_f16 v174, v43, v161
	ds_store_2addr_b32 v162, v144, v170 offset0:92 offset1:211
	v_pack_b32_f16 v144, v45, v159
	v_pack_b32_f16 v162, v41, v158
	ds_store_2addr_b32 v163, v169, v171 offset0:56 offset1:175
	ds_store_2addr_b32 v166, v145, v172 offset0:74 offset1:193
	;; [unrolled: 1-line block ×3, first 2 shown]
	ds_store_2addr_b32 v52, v168, v174 offset1:119
	ds_store_2addr_b32 v165, v144, v162 offset0:110 offset1:229
	global_wb scope:SCOPE_SE
	s_wait_dscnt 0x0
	s_barrier_signal -1
	s_barrier_wait -1
	global_inv scope:SCOPE_SE
	s_and_saveexec_b32 s1, vcc_lo
	s_cbranch_execz .LBB0_13
; %bb.12:
	global_load_b32 v144, v48, s[12:13] offset:7616
	s_add_nc_u64 s[2:3], s[12:13], 0x1dc0
	s_clause 0xf
	global_load_b32 v176, v48, s[2:3] offset:448
	global_load_b32 v177, v48, s[2:3] offset:896
	;; [unrolled: 1-line block ×16, first 2 shown]
	ds_load_b32 v145, v52
	v_add_nc_u32_e32 v192, 0x400, v48
	v_add_nc_u32_e32 v193, 0x800, v48
	;; [unrolled: 1-line block ×7, first 2 shown]
	s_wait_dscnt 0x0
	v_lshrrev_b32_e32 v162, 16, v145
	s_wait_loadcnt 0xf
	v_lshrrev_b32_e32 v199, 16, v176
	s_wait_loadcnt 0xe
	;; [unrolled: 2-line block ×12, first 2 shown]
	v_lshrrev_b32_e32 v210, 16, v187
	v_lshrrev_b32_e32 v163, 16, v144
	s_wait_loadcnt 0x3
	v_lshrrev_b32_e32 v211, 16, v188
	s_wait_loadcnt 0x2
	;; [unrolled: 2-line block ×4, first 2 shown]
	v_lshrrev_b32_e32 v214, 16, v191
	v_mul_f16_e64 v164, v162, v163
	v_mul_f16_e64 v163, v145, v163
	s_delay_alu instid0(VALU_DEP_2) | instskip(NEXT) | instid1(VALU_DEP_2)
	v_fma_f16 v145, v145, v144, -v164
	v_fmac_f16_e64 v163, v162, v144
	s_delay_alu instid0(VALU_DEP_1)
	v_pack_b32_f16 v144, v145, v163
	ds_store_b32 v52, v144
	ds_load_2addr_b32 v[144:145], v48 offset0:112 offset1:224
	ds_load_2addr_b32 v[162:163], v192 offset0:80 offset1:192
	;; [unrolled: 1-line block ×8, first 2 shown]
	s_wait_dscnt 0x7
	v_lshrrev_b32_e32 v215, 16, v144
	v_lshrrev_b32_e32 v217, 16, v145
	s_wait_dscnt 0x6
	v_lshrrev_b32_e32 v219, 16, v162
	v_lshrrev_b32_e32 v221, 16, v163
	;; [unrolled: 3-line block ×5, first 2 shown]
	v_mul_f16_e64 v216, v144, v199
	v_mul_f16_e64 v218, v145, v200
	s_wait_dscnt 0x2
	v_lshrrev_b32_e32 v235, 16, v170
	v_lshrrev_b32_e32 v237, 16, v171
	s_wait_dscnt 0x1
	v_lshrrev_b32_e32 v239, 16, v172
	v_lshrrev_b32_e32 v241, 16, v173
	;; [unrolled: 3-line block ×3, first 2 shown]
	v_mul_f16_e64 v199, v215, v199
	v_mul_f16_e64 v200, v217, v200
	;; [unrolled: 1-line block ×24, first 2 shown]
	v_fmac_f16_e64 v216, v215, v176
	v_fmac_f16_e64 v218, v217, v177
	v_mul_f16_e64 v209, v235, v209
	v_mul_f16_e64 v210, v237, v210
	;; [unrolled: 1-line block ×6, first 2 shown]
	v_fma_f16 v144, v144, v176, -v199
	v_fma_f16 v145, v145, v177, -v200
	v_fmac_f16_e64 v220, v219, v178
	v_fmac_f16_e64 v222, v221, v179
	v_fma_f16 v162, v162, v178, -v201
	v_fma_f16 v163, v163, v179, -v202
	v_fmac_f16_e64 v224, v223, v180
	v_fmac_f16_e64 v226, v225, v181
	;; [unrolled: 4-line block ×5, first 2 shown]
	v_fmac_f16_e64 v240, v239, v188
	v_fmac_f16_e64 v242, v241, v189
	;; [unrolled: 1-line block ×4, first 2 shown]
	v_fma_f16 v170, v170, v186, -v209
	v_fma_f16 v171, v171, v187, -v210
	;; [unrolled: 1-line block ×6, first 2 shown]
	v_pack_b32_f16 v144, v144, v216
	v_pack_b32_f16 v145, v145, v218
	;; [unrolled: 1-line block ×16, first 2 shown]
	ds_store_2addr_b32 v48, v144, v145 offset0:112 offset1:224
	ds_store_2addr_b32 v192, v162, v163 offset0:80 offset1:192
	;; [unrolled: 1-line block ×8, first 2 shown]
.LBB0_13:
	s_wait_alu 0xfffe
	s_or_b32 exec_lo, exec_lo, s1
	global_wb scope:SCOPE_SE
	s_wait_dscnt 0x0
	s_barrier_signal -1
	s_barrier_wait -1
	global_inv scope:SCOPE_SE
	s_and_saveexec_b32 s1, vcc_lo
	s_cbranch_execz .LBB0_15
; %bb.14:
	v_add_nc_u32_e32 v33, 0x200, v52
	v_add_nc_u32_e32 v34, 0x600, v52
	;; [unrolled: 1-line block ×4, first 2 shown]
	ds_load_2addr_b32 v[31:32], v52 offset1:112
	ds_load_2addr_b32 v[35:36], v33 offset0:96 offset1:208
	v_add_nc_u32_e32 v33, 0xc00, v52
	ds_load_2addr_b32 v[43:44], v34 offset0:64 offset1:176
	v_add_nc_u32_e32 v34, 0x1000, v52
	ds_load_2addr_b32 v[37:38], v37 offset0:32 offset1:144
	ds_load_2addr_b32 v[45:46], v33 offset0:128 offset1:240
	v_add_nc_u32_e32 v33, 0x1800, v52
	ds_load_2addr_b32 v[39:40], v34 offset0:96 offset1:208
	ds_load_2addr_b32 v[41:42], v41 offset0:64 offset1:176
	;; [unrolled: 1-line block ×3, first 2 shown]
	ds_load_b32 v142, v52 offset:7168
	s_wait_dscnt 0x8
	v_lshrrev_b32_e32 v160, 16, v31
	v_lshrrev_b32_e32 v157, 16, v32
	s_wait_dscnt 0x7
	v_lshrrev_b32_e32 v156, 16, v35
	v_lshrrev_b32_e32 v151, 16, v36
	;; [unrolled: 3-line block ×8, first 2 shown]
	s_wait_dscnt 0x0
	v_lshrrev_b32_e32 v47, 16, v142
.LBB0_15:
	s_wait_alu 0xfffe
	s_or_b32 exec_lo, exec_lo, s1
	s_delay_alu instid0(VALU_DEP_1)
	v_sub_f16_e64 v209, v157, v47
	v_add_f16_e64 v182, v47, v157
	v_add_f16_e64 v207, v142, v32
	v_sub_f16_e64 v174, v32, v142
	v_sub_f16_e64 v200, v156, v146
	v_mul_f16_e64 v208, 0xb5c8, v209
	v_mul_f16_e64 v51, 0x3b76, v182
	v_add_f16_e64 v187, v146, v156
	v_add_f16_e64 v162, v34, v35
	v_sub_f16_e32 v62, v35, v34
	v_fma_f16 v144, v207, 0x3b76, -v208
	v_fma_f16 v145, 0xb5c8, v174, v51
	v_mul_f16_e64 v61, 0xb964, v200
	v_mul_f16_e64 v63, 0x39e9, v187
	v_sub_f16_e64 v201, v151, v148
	v_add_f16_e64 v192, v148, v151
	v_add_f16_e64 v144, v31, v144
	;; [unrolled: 1-line block ×3, first 2 shown]
	v_fma_f16 v170, v162, 0x39e9, -v61
	v_fma_f16 v172, 0xb964, v62, v63
	v_add_f16_e64 v168, v33, v36
	v_mul_f16_e64 v64, 0xbb29, v201
	v_sub_f16_e64 v183, v36, v33
	v_mul_f16_e64 v66, 0x3722, v192
	v_sub_f16_e64 v202, v161, v150
	v_add_f16_e64 v195, v150, v161
	v_add_f16_e64 v144, v170, v144
	;; [unrolled: 1-line block ×3, first 2 shown]
	v_fma_f16 v176, v168, 0x3722, -v64
	v_fma_f16 v177, 0xbb29, v183, v66
	v_add_f16_e64 v172, v42, v43
	v_sub_f16_e64 v189, v43, v42
	v_mul_f16_e64 v67, 0xbbf7, v202
	v_mul_f16_e64 v77, 0x2de8, v195
	v_sub_f16_e64 v203, v155, v158
	v_add_f16_e64 v196, v158, v155
	v_add_f16_e64 v144, v176, v144
	;; [unrolled: 1-line block ×3, first 2 shown]
	v_fma_f16 v178, v172, 0x2de8, -v67
	v_fma_f16 v180, 0xbbf7, v189, v77
	v_add_f16_e64 v176, v41, v44
	v_mul_f16_e64 v78, 0xbbb2, v203
	v_sub_f16_e32 v79, v44, v41
	v_mul_f16_e64 v80, 0xb461, v196
	v_sub_f16_e64 v141, v154, v147
	v_add_f16_e64 v197, v147, v154
	v_add_f16_e64 v144, v178, v144
	;; [unrolled: 1-line block ×3, first 2 shown]
	v_fma_f16 v185, v176, 0xb461, -v78
	v_fma_f16 v186, 0xbbb2, v79, v80
	v_add_f16_e64 v180, v40, v37
	v_sub_f16_e64 v193, v37, v40
	v_mul_f16_e64 v81, 0xba62, v141
	v_mul_f16_e64 v83, 0xb8d2, v197
	v_sub_f16_e64 v206, v149, v152
	v_add_f16_e64 v198, v152, v149
	v_add_f16_e64 v144, v185, v144
	;; [unrolled: 1-line block ×3, first 2 shown]
	v_fma_f16 v188, v180, 0xb8d2, -v81
	v_fma_f16 v191, 0xba62, v193, v83
	v_add_f16_e64 v185, v39, v38
	v_mul_f16_e64 v84, 0xb836, v206
	v_sub_f16_e32 v85, v38, v39
	v_mul_f16_e64 v86, 0xbacd, v198
	v_sub_f16_e64 v205, v159, v153
	v_add_f16_e64 v199, v153, v159
	v_add_f16_e64 v144, v188, v144
	;; [unrolled: 1-line block ×3, first 2 shown]
	v_fma_f16 v210, v185, 0xbacd, -v84
	v_fma_f16 v211, 0xb836, v85, v86
	v_add_f16_e64 v188, v46, v45
	v_sub_f16_e64 v204, v45, v46
	v_mul_f16_e64 v88, 0xb1e1, v205
	v_mul_f16_e64 v165, 0xbbdd, v199
	v_add_f16_e64 v144, v210, v144
	v_add_f16_e64 v145, v211, v145
	global_wb scope:SCOPE_SE
	v_fma_f16 v210, v188, 0xbbdd, -v88
	v_fma_f16 v211, 0xb1e1, v204, v165
	s_barrier_signal -1
	s_barrier_wait -1
	global_inv scope:SCOPE_SE
	v_add_f16_e64 v143, v210, v144
	v_add_f16_e64 v170, v211, v145
	s_and_saveexec_b32 s1, vcc_lo
	s_cbranch_execz .LBB0_17
; %bb.16:
	v_add_f16_e32 v32, v32, v31
	v_mul_f16_e64 v214, 0xbbf7, v200
	v_mul_f16_e64 v218, 0xba62, v201
	;; [unrolled: 1-line block ×4, first 2 shown]
	v_add_f16_e32 v32, v35, v32
	v_mul_f16_e64 v35, 0xb964, v209
	v_mul_f16_e64 v223, 0x3bb2, v141
	;; [unrolled: 1-line block ×4, first 2 shown]
	v_add_f16_e32 v32, v36, v32
	v_mul_f16_e64 v36, 0xbb29, v209
	v_fma_f16 v210, v207, 0x39e9, -v35
	v_fmac_f16_e64 v35, 0x39e9, v207
	v_mul_f16_e64 v226, 0x3b29, v206
	v_add_f16_e32 v32, v43, v32
	v_mul_f16_e64 v227, 0x31e1, v183
	v_mul_f16_e64 v228, 0x3bb2, v189
	v_add_f16_e32 v35, v31, v35
	v_mul_f16_e64 v229, 0x3964, v79
	v_add_f16_e32 v32, v44, v32
	v_mul_f16_e64 v230, 0xba62, v200
	v_mul_f16_e64 v239, 0xb1e1, v62
	v_dual_mov_b32 v213, v47 :: v_dual_mov_b32 v178, v62
	s_delay_alu instid0(VALU_DEP_4) | instskip(SKIP_1) | instid1(VALU_DEP_4)
	v_add_f16_e32 v32, v37, v32
	v_mul_f16_e64 v37, 0xb1e1, v209
	v_fma_f16 v240, 0xbbdd, v187, v239
	v_dual_mov_b32 v190, v128 :: v_dual_mov_b32 v219, v135
	s_delay_alu instid0(VALU_DEP_4) | instskip(SKIP_3) | instid1(VALU_DEP_4)
	v_add_f16_e32 v32, v38, v32
	v_mul_f16_e64 v38, 0xbbf7, v209
	v_dual_mov_b32 v128, v102 :: v_dual_mov_b32 v135, v103
	v_dual_mov_b32 v215, v140 :: v_dual_mov_b32 v140, v104
	v_add_f16_e32 v32, v45, v32
	v_mov_b32_e32 v145, v107
	v_dual_mov_b32 v107, v106 :: v_dual_mov_b32 v212, v108
	v_mov_b32_e32 v106, v105
	s_delay_alu instid0(VALU_DEP_4) | instskip(SKIP_3) | instid1(VALU_DEP_4)
	v_add_f16_e32 v32, v46, v32
	v_fma_f16 v46, v207, 0x2de8, -v38
	v_fmac_f16_e64 v38, 0x2de8, v207
	v_dual_mov_b32 v211, v109 :: v_dual_mov_b32 v216, v137
	v_add_f16_e32 v32, v39, v32
	v_mul_f16_e64 v39, 0xb836, v209
	v_add_f16_e32 v46, v31, v46
	v_add_f16_e32 v38, v31, v38
	v_dual_mov_b32 v191, v85 :: v_dual_mov_b32 v194, v127
	v_add_f16_e32 v32, v40, v32
	v_mul_f16_e64 v40, 0xbbb2, v209
	v_fma_f16 v43, v207, 0xbacd, -v39
	v_fmac_f16_e64 v39, 0xbacd, v207
	v_dual_mov_b32 v137, v87 :: v_dual_mov_b32 v164, v132
	v_add_f16_e32 v32, v41, v32
	v_mul_f16_e64 v41, 0xba62, v209
	v_fma_f16 v45, v207, 0xb461, -v40
	v_fmac_f16_e64 v40, 0xb461, v207
	v_fma_f16 v209, v207, 0x3722, -v36
	v_add_f16_e32 v32, v42, v32
	v_fma_f16 v42, v207, 0xbbdd, -v37
	v_fmac_f16_e64 v37, 0xbbdd, v207
	v_fma_f16 v44, v207, 0xb8d2, -v41
	v_fmac_f16_e64 v41, 0xb8d2, v207
	v_fmac_f16_e64 v36, 0x3722, v207
	v_mul_f16_e64 v207, 0x3b76, v207
	v_add_f16_e64 v209, v31, v209
	v_add_f16_e32 v45, v31, v45
	v_add_f16_e32 v44, v31, v44
	;; [unrolled: 1-line block ×3, first 2 shown]
	v_add_f16_e64 v207, v207, v208
	v_add_f16_e64 v208, v31, v210
	v_add_f16_e32 v42, v31, v42
	v_add_f16_e32 v37, v31, v37
	;; [unrolled: 1-line block ×6, first 2 shown]
	v_add_f16_e64 v31, v31, v207
	scratch_store_b32 off, v37, off offset:172 ; 4-byte Folded Spill
	v_mul_f16_e64 v207, 0xb964, v174
	v_mul_f16_e64 v210, 0xb1e1, v189
	s_clause 0x1
	scratch_store_b32 off, v247, off offset:40
	scratch_store_b32 off, v31, off offset:60
	v_add_f16_e32 v31, v33, v32
	v_fma_f16 v32, 0x39e9, v182, v207
	v_mov_b32_e32 v127, v91
	v_mov_b32_e32 v167, v94
	v_dual_mov_b32 v169, v95 :: v_dual_mov_b32 v144, v110
	v_add_f16_e32 v31, v34, v31
	scratch_store_b32 off, v35, off offset:72 ; 4-byte Folded Spill
	v_mul_f16_e32 v35, 0xbbf7, v62
	v_add_f16_e64 v32, v160, v32
	v_mov_b32_e32 v171, v96
	scratch_store_b32 off, v31, off offset:48 ; 4-byte Folded Spill
	v_mul_f16_e32 v31, 0x3836, v79
	v_fma_f16 v33, 0x2de8, v187, v35
	v_dual_mov_b32 v173, v97 :: v_dual_mov_b32 v166, v115
	v_mov_b32_e32 v175, v98
	scratch_store_b32 off, v31, off offset:96 ; 4-byte Folded Spill
	v_add_f16_e32 v32, v33, v32
	v_fma_f16 v33, v162, 0x2de8, -v214
	v_dual_mov_b32 v177, v99 :: v_dual_mov_b32 v184, v124
	v_dual_mov_b32 v179, v100 :: v_dual_mov_b32 v124, v118
	s_delay_alu instid0(VALU_DEP_3)
	v_add_f16_e64 v33, v33, v208
	v_mul_f16_e64 v208, 0xba62, v183
	v_mov_b32_e32 v181, v101
	v_mov_b32_e32 v221, v131
	v_fmac_f16_e64 v214, 0x2de8, v162
	v_mov_b32_e32 v134, v253
	v_fma_f16 v34, 0xb8d2, v192, v208
	v_mov_b32_e32 v186, v79
	v_mov_b32_e32 v132, v92
	s_delay_alu instid0(VALU_DEP_3) | instskip(SKIP_1) | instid1(VALU_DEP_1)
	v_add_f16_e32 v32, v34, v32
	v_fma_f16 v34, 0xbbdd, v195, v210
	v_add_f16_e32 v32, v34, v32
	v_fma_f16 v34, 0xbacd, v196, v31
	v_mul_f16_e64 v31, 0x3bb2, v193
	s_delay_alu instid0(VALU_DEP_2) | instskip(NEXT) | instid1(VALU_DEP_2)
	v_add_f16_e32 v32, v34, v32
	v_fma_f16 v34, 0xb461, v197, v31
	scratch_store_b32 off, v31, off offset:88 ; 4-byte Folded Spill
	v_mul_f16_e32 v31, 0x3b29, v85
	v_add_f16_e32 v32, v34, v32
	v_fma_f16 v34, v168, 0xb8d2, -v218
	scratch_store_b32 off, v31, off offset:92 ; 4-byte Folded Spill
	v_fmac_f16_e64 v218, 0xb8d2, v168
	v_add_f16_e32 v33, v34, v33
	v_fma_f16 v34, 0x3722, v198, v31
	v_mul_f16_e64 v31, 0x35c8, v204
	s_delay_alu instid0(VALU_DEP_2)
	v_add_f16_e32 v32, v34, v32
	v_fma_f16 v34, v172, 0xbbdd, -v220
	scratch_store_b32 off, v31, off offset:80 ; 4-byte Folded Spill
	v_fmac_f16_e64 v220, 0xbbdd, v172
	v_add_f16_e32 v33, v34, v33
	v_fma_f16 v34, 0x3b76, v199, v31
	s_delay_alu instid0(VALU_DEP_1)
	v_add_f16_e32 v31, v34, v32
	v_fma_f16 v34, v176, 0xbacd, -v222
	scratch_store_b32 off, v36, off offset:84 ; 4-byte Folded Spill
	v_fma_f16 v36, 0xb8d2, v187, v225
	v_dual_mov_b32 v32, v125 :: v_dual_mov_b32 v125, v255
	v_add_f16_e32 v33, v34, v33
	v_fma_f16 v34, v180, 0xb461, -v223
	scratch_store_b32 off, v31, off offset:52 ; 4-byte Folded Spill
	v_mul_f16_e64 v255, 0x3836, v62
	v_fmac_f16_e64 v222, 0xbacd, v176
	v_fmac_f16_e64 v223, 0xb461, v180
	v_add_f16_e32 v33, v34, v33
	v_fma_f16 v34, 0x3722, v182, v224
	v_fma_f16 v47, 0xbacd, v187, v255
	s_delay_alu instid0(VALU_DEP_2) | instskip(NEXT) | instid1(VALU_DEP_1)
	v_add_f16_e64 v34, v160, v34
	v_add_f16_e32 v34, v36, v34
	v_fma_f16 v36, v185, 0x3722, -v226
	v_fmac_f16_e64 v226, 0x3722, v185
	s_delay_alu instid0(VALU_DEP_2) | instskip(SKIP_1) | instid1(VALU_DEP_1)
	v_add_f16_e32 v33, v36, v33
	v_fma_f16 v36, 0xbbdd, v192, v227
	v_add_f16_e32 v34, v36, v34
	v_mul_f16_e64 v36, 0x35c8, v205
	s_delay_alu instid0(VALU_DEP_1) | instskip(SKIP_1) | instid1(VALU_DEP_2)
	v_fma_f16 v37, v188, 0x3b76, -v36
	v_fmac_f16_e64 v36, 0x3b76, v188
	v_add_f16_e32 v31, v37, v33
	v_fma_f16 v37, 0xb461, v195, v228
	v_mov_b32_e32 v33, v123
	scratch_store_b32 off, v31, off offset:56 ; 4-byte Folded Spill
	v_add_f16_e32 v34, v37, v34
	v_fma_f16 v37, 0x39e9, v196, v229
	s_delay_alu instid0(VALU_DEP_1) | instskip(SKIP_2) | instid1(VALU_DEP_2)
	v_add_f16_e32 v34, v37, v34
	v_fma_f16 v37, v162, 0xb8d2, -v230
	v_fmac_f16_e64 v230, 0xb8d2, v162
	v_add_f16_e64 v37, v37, v209
	v_mul_f16_e64 v209, 0xb5c8, v193
	s_delay_alu instid0(VALU_DEP_1) | instskip(NEXT) | instid1(VALU_DEP_1)
	v_fma_f16 v231, 0x3b76, v197, v209
	v_add_f16_e64 v34, v231, v34
	v_mul_f16_e64 v231, 0x31e1, v201
	s_delay_alu instid0(VALU_DEP_1) | instskip(SKIP_1) | instid1(VALU_DEP_2)
	v_fma_f16 v232, v168, 0xbbdd, -v231
	v_fmac_f16_e64 v231, 0xbbdd, v168
	v_add_f16_e64 v37, v232, v37
	v_mul_f16_e64 v232, 0xbbf7, v85
	s_delay_alu instid0(VALU_DEP_1) | instskip(NEXT) | instid1(VALU_DEP_1)
	v_fma_f16 v233, 0x2de8, v198, v232
	v_add_f16_e64 v34, v233, v34
	v_mul_f16_e64 v233, 0x3bb2, v202
	s_delay_alu instid0(VALU_DEP_1) | instskip(SKIP_1) | instid1(VALU_DEP_2)
	v_fma_f16 v234, v172, 0xb461, -v233
	v_fmac_f16_e64 v233, 0xb461, v172
	v_add_f16_e64 v37, v234, v37
	v_mul_f16_e64 v234, 0xb836, v204
	s_delay_alu instid0(VALU_DEP_1) | instskip(NEXT) | instid1(VALU_DEP_1)
	v_fma_f16 v235, 0xbacd, v199, v234
	v_add_f16_e64 v31, v235, v34
	v_mul_f16_e64 v235, 0x3964, v203
	scratch_store_b32 off, v31, off offset:64 ; 4-byte Folded Spill
	v_fma_f16 v236, v176, 0x39e9, -v235
	v_fmac_f16_e64 v235, 0x39e9, v176
	s_delay_alu instid0(VALU_DEP_2) | instskip(SKIP_1) | instid1(VALU_DEP_1)
	v_add_f16_e64 v37, v236, v37
	v_mul_f16_e64 v236, 0xb5c8, v141
	v_fma_f16 v237, v180, 0x3b76, -v236
	v_fmac_f16_e64 v236, 0x3b76, v180
	s_delay_alu instid0(VALU_DEP_2) | instskip(SKIP_1) | instid1(VALU_DEP_1)
	v_add_f16_e64 v37, v237, v37
	v_mul_f16_e64 v237, 0xbbf7, v174
	v_fma_f16 v238, 0x2de8, v182, v237
	s_delay_alu instid0(VALU_DEP_1) | instskip(NEXT) | instid1(VALU_DEP_1)
	v_add_f16_e64 v238, v160, v238
	v_add_f16_e64 v238, v240, v238
	v_mul_f16_e64 v240, 0xbbf7, v206
	s_delay_alu instid0(VALU_DEP_1) | instskip(SKIP_1) | instid1(VALU_DEP_2)
	v_fma_f16 v241, v185, 0x2de8, -v240
	v_fmac_f16_e64 v240, 0x2de8, v185
	v_add_f16_e64 v37, v241, v37
	v_mul_f16_e64 v241, 0x3bb2, v183
	s_delay_alu instid0(VALU_DEP_1) | instskip(NEXT) | instid1(VALU_DEP_1)
	v_fma_f16 v242, 0xb461, v192, v241
	v_add_f16_e64 v238, v242, v238
	v_mul_f16_e64 v242, 0xb836, v205
	s_delay_alu instid0(VALU_DEP_1) | instskip(SKIP_1) | instid1(VALU_DEP_2)
	v_fma_f16 v243, v188, 0xbacd, -v242
	v_fmac_f16_e64 v242, 0xbacd, v188
	v_add_f16_e64 v31, v243, v37
	v_mul_f16_e64 v243, 0x35c8, v189
	v_dual_mov_b32 v37, v136 :: v_dual_mov_b32 v136, v120
	v_mov_b32_e32 v131, v111
	scratch_store_b32 off, v31, off offset:68 ; 4-byte Folded Spill
	v_fma_f16 v244, 0x3b76, v195, v243
	s_clause 0x3
	scratch_store_b32 off, v130, off offset:16
	scratch_store_b32 off, v248, off offset:24
	;; [unrolled: 1-line block ×4, first 2 shown]
	v_mov_b32_e32 v129, v249
	s_clause 0x1
	scratch_store_b32 off, v250, off offset:28
	scratch_store_b32 off, v252, off offset:32
	v_add_f16_e64 v238, v244, v238
	v_mul_f16_e64 v244, 0xbb29, v79
	s_clause 0x5
	scratch_store_b32 off, v251, off offset:36
	scratch_store_b32 off, v90, off offset:44
	;; [unrolled: 1-line block ×6, first 2 shown]
	v_fma_f16 v245, 0x3722, v196, v244
	s_clause 0x3
	scratch_store_b32 off, v63, off offset:148
	scratch_store_b32 off, v66, off offset:152
	;; [unrolled: 1-line block ×4, first 2 shown]
	v_add_f16_e64 v238, v245, v238
	v_mul_f16_e64 v245, 0xb1e1, v200
	scratch_store_b32 off, v80, off offset:164 ; 4-byte Folded Spill
	v_mul_f16_e64 v80, 0x3bb2, v178
	s_clause 0x1
	scratch_store_b32 off, v81, off offset:132
	scratch_store_b32 off, v86, off offset:168
	v_fma_f16 v246, v162, 0xbbdd, -v245
	v_mul_f16_e64 v90, 0x3b29, v178
	v_fma_f16 v81, 0xb461, v187, v80
	v_fma_f16 v80, v187, 0xb461, -v80
	v_mov_b32_e32 v130, v119
	v_add_f16_e64 v46, v246, v46
	v_mul_f16_e64 v246, 0xb836, v193
	v_fma_f16 v91, 0x3722, v187, v90
	v_fma_f16 v90, v187, 0x3722, -v90
	v_mov_b32_e32 v139, v121
	v_fmac_f16_e64 v245, 0xbbdd, v162
	v_fma_f16 v247, 0xbacd, v197, v246
	s_delay_alu instid0(VALU_DEP_2) | instskip(NEXT) | instid1(VALU_DEP_2)
	v_add_f16_e64 v38, v245, v38
	v_add_f16_e64 v238, v247, v238
	v_mul_f16_e64 v247, 0x3bb2, v201
	s_delay_alu instid0(VALU_DEP_1) | instskip(SKIP_1) | instid1(VALU_DEP_2)
	v_fma_f16 v248, v168, 0xb461, -v247
	v_fmac_f16_e64 v247, 0xb461, v168
	v_add_f16_e64 v46, v248, v46
	v_mul_f16_e64 v248, 0x3a62, v85
	s_delay_alu instid0(VALU_DEP_3) | instskip(SKIP_2) | instid1(VALU_DEP_1)
	v_add_f16_e64 v38, v247, v38
	scratch_load_b32 v247, off, off offset:40 ; 4-byte Folded Reload
	v_fma_f16 v249, 0xb8d2, v198, v248
	v_add_f16_e64 v238, v249, v238
	v_mul_f16_e64 v249, 0x35c8, v202
	s_delay_alu instid0(VALU_DEP_1) | instskip(SKIP_1) | instid1(VALU_DEP_2)
	v_fma_f16 v250, v172, 0x3b76, -v249
	v_fmac_f16_e64 v249, 0x3b76, v172
	v_add_f16_e64 v46, v250, v46
	v_mul_f16_e64 v250, 0x3964, v204
	s_delay_alu instid0(VALU_DEP_3) | instskip(SKIP_1) | instid1(VALU_DEP_3)
	v_add_f16_e64 v38, v249, v38
	v_mov_b32_e32 v249, v129
	v_fma_f16 v251, 0x39e9, v199, v250
	s_delay_alu instid0(VALU_DEP_1)
	v_add_f16_e64 v31, v251, v238
	v_mul_f16_e64 v251, 0xbb29, v203
	v_mov_b32_e32 v238, v254
	scratch_store_b32 off, v31, off offset:76 ; 4-byte Folded Spill
	v_fma_f16 v252, v176, 0x3722, -v251
	scratch_store_b32 off, v51, off offset:124 ; 4-byte Folded Spill
	v_mov_b32_e32 v31, v93
	v_fmac_f16_e64 v251, 0x3722, v176
	v_add_f16_e64 v46, v252, v46
	v_mul_f16_e64 v252, 0xb836, v141
	s_delay_alu instid0(VALU_DEP_3) | instskip(NEXT) | instid1(VALU_DEP_2)
	v_add_f16_e64 v38, v251, v38
	v_fma_f16 v253, v180, 0xbacd, -v252
	v_fmac_f16_e64 v252, 0xbacd, v180
	s_delay_alu instid0(VALU_DEP_2) | instskip(SKIP_1) | instid1(VALU_DEP_3)
	v_add_f16_e64 v46, v253, v46
	v_mul_f16_e64 v253, 0xbbb2, v174
	v_add_f16_e64 v38, v252, v38
	s_delay_alu instid0(VALU_DEP_2) | instskip(NEXT) | instid1(VALU_DEP_1)
	v_fma_f16 v254, 0xb461, v182, v253
	v_add_f16_e64 v254, v160, v254
	s_delay_alu instid0(VALU_DEP_1) | instskip(SKIP_1) | instid1(VALU_DEP_1)
	v_add_f16_e64 v47, v47, v254
	v_mul_f16_e64 v254, 0x3a62, v206
	v_fma_f16 v49, v185, 0xb8d2, -v254
	v_fmac_f16_e64 v254, 0xb8d2, v185
	s_delay_alu instid0(VALU_DEP_2) | instskip(SKIP_1) | instid1(VALU_DEP_3)
	v_add_f16_e32 v46, v49, v46
	v_mul_f16_e64 v49, 0x3964, v183
	v_add_f16_e64 v38, v254, v38
	v_mov_b32_e32 v254, v238
	s_delay_alu instid0(VALU_DEP_3) | instskip(SKIP_1) | instid1(VALU_DEP_2)
	v_fma_f16 v51, 0x39e9, v192, v49
	v_fma_f16 v49, v192, 0x39e9, -v49
	v_add_f16_e32 v47, v51, v47
	v_mul_f16_e64 v51, 0x3964, v205
	s_delay_alu instid0(VALU_DEP_1) | instskip(SKIP_1) | instid1(VALU_DEP_2)
	v_fma_f16 v93, v188, 0x39e9, -v51
	v_fmac_f16_e64 v51, 0x39e9, v188
	v_add_f16_e32 v34, v93, v46
	v_mul_f16_e64 v93, 0xbb29, v189
	v_dual_mov_b32 v46, v113 :: v_dual_mov_b32 v163, v138
	v_mov_b32_e32 v138, v122
	scratch_store_b32 off, v34, off offset:100 ; 4-byte Folded Spill
	v_fma_f16 v61, 0x3722, v195, v93
	v_add_f16_e32 v38, v51, v38
	v_fma_f16 v51, v182, 0x39e9, -v207
	s_delay_alu instid0(VALU_DEP_3) | instskip(SKIP_1) | instid1(VALU_DEP_3)
	v_add_f16_e32 v47, v61, v47
	v_mul_f16_e32 v61, 0xb1e1, v79
	v_add_f16_e64 v51, v160, v51
	s_delay_alu instid0(VALU_DEP_2) | instskip(SKIP_1) | instid1(VALU_DEP_2)
	v_fma_f16 v62, 0xbbdd, v196, v61
	v_fma_f16 v61, v196, 0xbbdd, -v61
	v_add_f16_e32 v47, v62, v47
	v_mul_f16_e64 v62, 0x3836, v200
	s_delay_alu instid0(VALU_DEP_1) | instskip(SKIP_1) | instid1(VALU_DEP_2)
	v_fma_f16 v63, v162, 0xbacd, -v62
	v_fmac_f16_e64 v62, 0xbacd, v162
	v_add_f16_e32 v45, v63, v45
	v_mul_f16_e64 v63, 0x3bf7, v193
	s_delay_alu instid0(VALU_DEP_3) | instskip(SKIP_2) | instid1(VALU_DEP_4)
	v_add_f16_e32 v40, v62, v40
	v_fma_f16 v62, v195, 0x3722, -v93
	v_mov_b32_e32 v93, v31
	v_fma_f16 v64, 0x2de8, v197, v63
	s_delay_alu instid0(VALU_DEP_1) | instskip(SKIP_1) | instid1(VALU_DEP_1)
	v_add_f16_e32 v47, v64, v47
	v_mul_f16_e64 v64, 0x3964, v201
	v_fma_f16 v65, v168, 0x39e9, -v64
	v_fmac_f16_e64 v64, 0x39e9, v168
	s_delay_alu instid0(VALU_DEP_2) | instskip(SKIP_1) | instid1(VALU_DEP_3)
	v_add_f16_e32 v45, v65, v45
	v_mul_f16_e32 v65, 0xb5c8, v85
	v_add_f16_e32 v40, v64, v40
	v_fma_f16 v64, v198, 0x2de8, -v232
	s_delay_alu instid0(VALU_DEP_3) | instskip(NEXT) | instid1(VALU_DEP_1)
	v_fma_f16 v66, 0x3b76, v198, v65
	v_add_f16_e32 v47, v66, v47
	v_mul_f16_e64 v66, 0xbb29, v202
	s_delay_alu instid0(VALU_DEP_1) | instskip(SKIP_1) | instid1(VALU_DEP_2)
	v_fma_f16 v67, v172, 0x3722, -v66
	v_fmac_f16_e64 v66, 0x3722, v172
	v_add_f16_e32 v45, v67, v45
	v_mul_f16_e64 v67, 0xba62, v204
	s_delay_alu instid0(VALU_DEP_3) | instskip(SKIP_1) | instid1(VALU_DEP_3)
	v_add_f16_e32 v40, v66, v40
	v_add_f16_e64 v66, v157, v160
	v_fma_f16 v70, 0xb8d2, v199, v67
	s_delay_alu instid0(VALU_DEP_2) | instskip(NEXT) | instid1(VALU_DEP_2)
	v_add_f16_e64 v66, v156, v66
	v_add_f16_e32 v34, v70, v47
	v_mul_f16_e64 v70, 0xb1e1, v203
	v_mov_b32_e32 v47, v112
	s_delay_alu instid0(VALU_DEP_4)
	v_add_f16_e64 v66, v151, v66
	s_clause 0x1
	scratch_store_b32 off, v34, off offset:104
	scratch_store_b32 off, v77, off offset:156
	v_fma_f16 v77, v176, 0xbbdd, -v70
	v_fmac_f16_e64 v70, 0xbbdd, v176
	s_delay_alu instid0(VALU_DEP_2) | instskip(SKIP_1) | instid1(VALU_DEP_3)
	v_add_f16_e32 v45, v77, v45
	v_mul_f16_e64 v77, 0x3bf7, v141
	v_add_f16_e32 v40, v70, v40
	v_mul_f16_e64 v70, 0xb964, v178
	s_delay_alu instid0(VALU_DEP_3) | instskip(SKIP_1) | instid1(VALU_DEP_2)
	v_fma_f16 v78, v180, 0x2de8, -v77
	v_fmac_f16_e64 v77, 0x2de8, v180
	v_add_f16_e32 v45, v78, v45
	v_mul_f16_e64 v78, 0xba62, v174
	s_delay_alu instid0(VALU_DEP_3) | instskip(SKIP_1) | instid1(VALU_DEP_3)
	v_add_f16_e32 v40, v77, v40
	v_mul_f16_e64 v77, 0x39e9, v162
	v_fma_f16 v79, 0xb8d2, v182, v78
	v_fma_f16 v78, v182, 0xb8d2, -v78
	s_delay_alu instid0(VALU_DEP_2) | instskip(NEXT) | instid1(VALU_DEP_2)
	v_add_f16_e64 v79, v160, v79
	v_add_f16_e64 v78, v160, v78
	s_delay_alu instid0(VALU_DEP_2) | instskip(SKIP_1) | instid1(VALU_DEP_3)
	v_add_f16_e32 v79, v81, v79
	v_mul_f16_e64 v81, 0xb5c8, v206
	v_add_f16_e32 v78, v80, v78
	s_delay_alu instid0(VALU_DEP_2) | instskip(SKIP_1) | instid1(VALU_DEP_2)
	v_fma_f16 v82, v185, 0x3b76, -v81
	v_fmac_f16_e64 v81, 0x3b76, v185
	v_add_f16_e32 v45, v82, v45
	v_mul_f16_e64 v82, 0xb5c8, v183
	s_delay_alu instid0(VALU_DEP_3) | instskip(NEXT) | instid1(VALU_DEP_2)
	v_add_f16_e32 v40, v81, v40
	v_fma_f16 v83, 0x3b76, v192, v82
	v_fma_f16 v82, v192, 0x3b76, -v82
	s_delay_alu instid0(VALU_DEP_2) | instskip(SKIP_1) | instid1(VALU_DEP_3)
	v_add_f16_e32 v79, v83, v79
	v_mul_f16_e64 v83, 0xba62, v205
	v_add_f16_e32 v78, v82, v78
	s_delay_alu instid0(VALU_DEP_2) | instskip(SKIP_1) | instid1(VALU_DEP_2)
	v_fma_f16 v84, v188, 0xb8d2, -v83
	v_fmac_f16_e64 v83, 0xb8d2, v188
	v_add_f16_e32 v34, v84, v45
	v_mul_f16_e64 v84, 0xb836, v189
	s_delay_alu instid0(VALU_DEP_3) | instskip(SKIP_2) | instid1(VALU_DEP_1)
	v_add_f16_e32 v40, v83, v40
	scratch_store_b32 off, v34, off offset:108 ; 4-byte Folded Spill
	v_fma_f16 v102, 0xbacd, v195, v84
	v_add_f16_e32 v79, v102, v79
	v_mul_f16_e64 v102, 0x3bf7, v186
	s_delay_alu instid0(VALU_DEP_1) | instskip(NEXT) | instid1(VALU_DEP_1)
	v_fma_f16 v103, 0x2de8, v196, v102
	v_add_f16_e32 v79, v103, v79
	v_mul_f16_e64 v103, 0x3bb2, v200
	s_delay_alu instid0(VALU_DEP_1) | instskip(SKIP_1) | instid1(VALU_DEP_2)
	v_fma_f16 v104, v162, 0xb461, -v103
	v_fmac_f16_e64 v103, 0xb461, v162
	v_add_f16_e32 v44, v104, v44
	v_mul_f16_e64 v104, 0xb964, v193
	s_delay_alu instid0(VALU_DEP_3) | instskip(SKIP_2) | instid1(VALU_DEP_4)
	v_add_f16_e32 v41, v103, v41
	v_mov_b32_e32 v103, v135
	v_mov_b32_e32 v135, v219
	v_fma_f16 v105, 0x39e9, v197, v104
	s_delay_alu instid0(VALU_DEP_1) | instskip(SKIP_1) | instid1(VALU_DEP_1)
	v_add_f16_e32 v79, v105, v79
	v_mul_f16_e64 v105, 0xb5c8, v201
	v_fma_f16 v108, v168, 0x3b76, -v105
	v_fmac_f16_e64 v105, 0x3b76, v168
	s_delay_alu instid0(VALU_DEP_2) | instskip(SKIP_1) | instid1(VALU_DEP_3)
	v_add_f16_e32 v44, v108, v44
	v_mul_f16_e32 v108, 0xb1e1, v85
	v_add_f16_e32 v41, v105, v41
	s_delay_alu instid0(VALU_DEP_2) | instskip(NEXT) | instid1(VALU_DEP_1)
	v_fma_f16 v109, 0xbbdd, v198, v108
	v_add_f16_e32 v79, v109, v79
	v_mul_f16_e64 v109, 0xb836, v202
	s_delay_alu instid0(VALU_DEP_1) | instskip(SKIP_1) | instid1(VALU_DEP_2)
	v_fma_f16 v85, v172, 0xbacd, -v109
	v_fmac_f16_e64 v109, 0xbacd, v172
	v_add_f16_e32 v44, v85, v44
	v_mul_f16_e64 v85, 0x3b29, v204
	s_delay_alu instid0(VALU_DEP_3) | instskip(SKIP_1) | instid1(VALU_DEP_3)
	v_add_f16_e32 v41, v109, v41
	v_mov_b32_e32 v109, v211
	v_fma_f16 v86, 0x3722, v199, v85
	s_delay_alu instid0(VALU_DEP_1)
	v_add_f16_e32 v34, v86, v79
	v_mul_f16_e64 v86, 0x3bf7, v203
	v_mov_b32_e32 v79, v88
	scratch_store_b32 off, v34, off offset:112 ; 4-byte Folded Spill
	v_fma_f16 v87, v176, 0x2de8, -v86
	v_fmac_f16_e64 v86, 0x2de8, v176
	s_delay_alu instid0(VALU_DEP_2) | instskip(SKIP_1) | instid1(VALU_DEP_3)
	v_add_f16_e32 v44, v87, v44
	v_mul_f16_e64 v87, 0xb964, v141
	v_add_f16_e32 v41, v86, v41
	s_delay_alu instid0(VALU_DEP_2) | instskip(SKIP_1) | instid1(VALU_DEP_2)
	v_fma_f16 v88, v180, 0x39e9, -v87
	v_fmac_f16_e64 v87, 0x39e9, v180
	v_add_f16_e32 v44, v88, v44
	v_mul_f16_e64 v88, 0xb836, v174
	s_delay_alu instid0(VALU_DEP_3) | instskip(SKIP_2) | instid1(VALU_DEP_4)
	v_add_f16_e32 v41, v87, v41
	v_mov_b32_e32 v87, v137
	v_mov_b32_e32 v137, v216
	v_fma_f16 v89, 0xbacd, v182, v88
	v_fma_f16 v88, v182, 0xbacd, -v88
	s_delay_alu instid0(VALU_DEP_2) | instskip(NEXT) | instid1(VALU_DEP_2)
	v_add_f16_e64 v89, v160, v89
	v_add_f16_e64 v88, v160, v88
	s_delay_alu instid0(VALU_DEP_2) | instskip(SKIP_1) | instid1(VALU_DEP_3)
	v_add_f16_e32 v89, v91, v89
	v_mul_f16_e64 v91, 0xb1e1, v206
	v_add_f16_e32 v88, v90, v88
	v_mul_f16_e64 v90, 0x3bf7, v205
	s_delay_alu instid0(VALU_DEP_3) | instskip(SKIP_1) | instid1(VALU_DEP_2)
	v_fma_f16 v92, v185, 0xbbdd, -v91
	v_fmac_f16_e64 v91, 0xbbdd, v185
	v_add_f16_e32 v44, v92, v44
	v_mul_f16_e64 v92, 0xbbf7, v183
	s_delay_alu instid0(VALU_DEP_3) | instskip(NEXT) | instid1(VALU_DEP_2)
	v_add_f16_e32 v41, v91, v41
	v_fma_f16 v94, 0x2de8, v192, v92
	v_fma_f16 v92, v192, 0x2de8, -v92
	s_delay_alu instid0(VALU_DEP_2) | instskip(SKIP_1) | instid1(VALU_DEP_3)
	v_add_f16_e32 v89, v94, v89
	v_mul_f16_e64 v94, 0x3b29, v205
	v_add_f16_e32 v88, v92, v88
	s_delay_alu instid0(VALU_DEP_2) | instskip(SKIP_1) | instid1(VALU_DEP_2)
	v_fma_f16 v95, v188, 0x3722, -v94
	v_fmac_f16_e64 v94, 0x3722, v188
	v_add_f16_e32 v34, v95, v44
	v_mul_f16_e64 v95, 0x3a62, v189
	v_mov_b32_e32 v44, v126
	v_dual_mov_b32 v126, v116 :: v_dual_mov_b32 v217, v133
	scratch_store_b32 off, v34, off offset:136 ; 4-byte Folded Spill
	v_fma_f16 v96, 0xb8d2, v195, v95
	v_mov_b32_e32 v34, v24
	v_fma_f16 v92, v195, 0xb8d2, -v95
	v_mov_b32_e32 v133, v117
	v_mov_b32_e32 v105, v106
	v_add_f16_e32 v89, v96, v89
	v_mul_f16_e64 v96, 0xb5c8, v186
	v_add_f16_e32 v88, v92, v88
	v_add_f16_e32 v41, v94, v41
	v_dual_mov_b32 v95, v169 :: v_dual_mov_b32 v106, v107
	s_delay_alu instid0(VALU_DEP_4) | instskip(SKIP_3) | instid1(VALU_DEP_4)
	v_fma_f16 v97, 0x3b76, v196, v96
	v_fma_f16 v92, v196, 0x3b76, -v96
	v_dual_mov_b32 v96, v171 :: v_dual_mov_b32 v45, v114
	v_mul_f16_e64 v114, 0x35c8, v178
	v_add_f16_e32 v89, v97, v89
	v_mul_f16_e64 v97, 0x3b29, v200
	v_add_f16_e32 v88, v92, v88
	v_mov_b32_e32 v92, v132
	v_fma_f16 v115, 0x3b76, v187, v114
	v_fma_f16 v114, v187, 0x3b76, -v114
	v_fma_f16 v98, v162, 0x3722, -v97
	v_fmac_f16_e64 v97, 0x3722, v162
	v_dual_mov_b32 v132, v164 :: v_dual_mov_b32 v107, v145
	v_mov_b32_e32 v91, v127
	s_delay_alu instid0(VALU_DEP_4) | instskip(SKIP_4) | instid1(VALU_DEP_4)
	v_add_f16_e32 v43, v98, v43
	v_mul_f16_e64 v98, 0xb1e1, v193
	v_add_f16_e32 v39, v97, v39
	v_mov_b32_e32 v97, v173
	v_dual_mov_b32 v127, v194 :: v_dual_mov_b32 v94, v167
	v_fma_f16 v99, 0xbbdd, v197, v98
	v_fma_f16 v80, v197, 0xbbdd, -v98
	v_mov_b32_e32 v98, v175
	s_delay_alu instid0(VALU_DEP_3) | instskip(SKIP_1) | instid1(VALU_DEP_4)
	v_add_f16_e32 v89, v99, v89
	v_mul_f16_e64 v99, 0xbbf7, v201
	v_add_f16_e32 v80, v80, v88
	s_delay_alu instid0(VALU_DEP_2) | instskip(SKIP_1) | instid1(VALU_DEP_2)
	v_fma_f16 v100, v168, 0x2de8, -v99
	v_fmac_f16_e64 v99, 0x2de8, v168
	v_add_f16_e32 v43, v100, v43
	v_mul_f16_e64 v100, 0x3964, v191
	s_delay_alu instid0(VALU_DEP_3) | instskip(SKIP_1) | instid1(VALU_DEP_3)
	v_add_f16_e32 v39, v99, v39
	v_mov_b32_e32 v99, v177
	v_fma_f16 v101, 0x39e9, v198, v100
	v_fma_f16 v82, v198, 0x39e9, -v100
	v_mov_b32_e32 v100, v179
	s_delay_alu instid0(VALU_DEP_3) | instskip(SKIP_1) | instid1(VALU_DEP_4)
	v_add_f16_e32 v89, v101, v89
	v_mul_f16_e64 v101, 0x3a62, v202
	v_add_f16_e32 v80, v82, v80
	v_fma_f16 v82, v195, 0xbacd, -v84
	s_delay_alu instid0(VALU_DEP_3) | instskip(SKIP_1) | instid1(VALU_DEP_3)
	v_fma_f16 v24, v172, 0xb8d2, -v101
	v_fmac_f16_e64 v101, 0xb8d2, v172
	v_add_f16_e32 v78, v82, v78
	v_fma_f16 v82, v187, 0xbacd, -v255
	s_delay_alu instid0(VALU_DEP_4) | instskip(SKIP_3) | instid1(VALU_DEP_3)
	v_add_f16_e32 v24, v24, v43
	v_mul_f16_e64 v43, 0xbbb2, v204
	v_add_f16_e32 v39, v101, v39
	v_mov_b32_e32 v101, v181
	v_fma_f16 v110, 0xb461, v199, v43
	v_fma_f16 v43, v199, 0xb461, -v43
	s_delay_alu instid0(VALU_DEP_2) | instskip(SKIP_1) | instid1(VALU_DEP_3)
	v_add_f16_e32 v89, v110, v89
	v_mul_f16_e64 v110, 0xb5c8, v203
	v_add_f16_e32 v43, v43, v80
	v_fma_f16 v80, v196, 0x2de8, -v102
	v_mov_b32_e32 v102, v128
	v_mov_b32_e32 v128, v190
	v_fma_f16 v111, v176, 0x3b76, -v110
	v_fmac_f16_e64 v110, 0x3b76, v176
	v_add_f16_e32 v78, v80, v78
	v_fma_f16 v80, v197, 0x39e9, -v104
	v_mov_b32_e32 v104, v140
	v_add_f16_e32 v24, v111, v24
	v_mul_f16_e64 v111, 0xb1e1, v141
	v_add_f16_e32 v39, v110, v39
	v_add_f16_e32 v78, v80, v78
	v_fma_f16 v80, v198, 0xbbdd, -v108
	v_mov_b32_e32 v110, v144
	v_fma_f16 v112, v180, 0xbbdd, -v111
	v_fmac_f16_e64 v111, 0xbbdd, v180
	v_mov_b32_e32 v140, v215
	v_add_f16_e32 v78, v80, v78
	v_fma_f16 v80, v199, 0x3722, -v85
	v_add_f16_e32 v24, v112, v24
	v_mul_f16_e64 v112, 0xb1e1, v174
	v_add_f16_e32 v39, v111, v39
	v_mov_b32_e32 v108, v212
	v_add_f16_e32 v78, v80, v78
	v_fma_f16 v80, v182, 0xb461, -v253
	v_fma_f16 v113, 0xbbdd, v182, v112
	v_fma_f16 v112, v182, 0xbbdd, -v112
	s_delay_alu instid0(VALU_DEP_4) | instskip(NEXT) | instid1(VALU_DEP_4)
	v_pack_b32_f16 v41, v41, v78
	v_add_f16_e64 v80, v160, v80
	s_delay_alu instid0(VALU_DEP_4) | instskip(NEXT) | instid1(VALU_DEP_4)
	v_add_f16_e64 v113, v160, v113
	v_add_f16_e64 v112, v160, v112
	s_delay_alu instid0(VALU_DEP_3) | instskip(NEXT) | instid1(VALU_DEP_3)
	v_add_f16_e32 v80, v82, v80
	v_add_f16_e32 v113, v115, v113
	v_mul_f16_e64 v115, 0x3964, v206
	s_delay_alu instid0(VALU_DEP_4) | instskip(NEXT) | instid1(VALU_DEP_4)
	v_add_f16_e32 v112, v114, v112
	v_add_f16_e32 v49, v49, v80
	s_delay_alu instid0(VALU_DEP_3) | instskip(SKIP_1) | instid1(VALU_DEP_3)
	v_fma_f16 v116, v185, 0x39e9, -v115
	v_fmac_f16_e64 v115, 0x39e9, v185
	v_add_f16_e32 v49, v62, v49
	v_fma_f16 v62, v187, 0xbbdd, -v239
	s_delay_alu instid0(VALU_DEP_4)
	v_add_f16_e32 v24, v116, v24
	v_mul_f16_e64 v116, 0xb836, v183
	v_add_f16_e32 v39, v115, v39
	v_add_f16_e32 v49, v61, v49
	v_fma_f16 v61, v197, 0x2de8, -v63
	v_fma_f16 v63, v187, 0xb8d2, -v225
	;; [unrolled: 1-line block ×3, first 2 shown]
	v_fma_f16 v117, 0xbacd, v192, v116
	v_mul_f16_e64 v116, 0x3b29, v141
	v_add_f16_e32 v49, v61, v49
	v_fma_f16 v61, v198, 0x3b76, -v65
	v_add_f16_e32 v112, v114, v112
	scratch_load_b32 v114, off, off offset:172 th:TH_LOAD_LU ; 4-byte Folded Reload
	v_add_f16_e32 v113, v117, v113
	v_mul_f16_e64 v117, 0xbbb2, v205
	v_add_f16_e32 v49, v61, v49
	v_fma_f16 v61, v182, 0x2de8, -v237
	v_fma_f16 v65, v199, 0xbacd, -v234
	v_mov_b32_e32 v115, v166
	v_fma_f16 v118, v188, 0xb461, -v117
	v_fmac_f16_e64 v117, 0xb461, v188
	v_add_f16_e64 v61, v160, v61
	s_delay_alu instid0(VALU_DEP_3) | instskip(SKIP_1) | instid1(VALU_DEP_3)
	v_add_f16_e32 v24, v118, v24
	v_mul_f16_e64 v118, 0x3964, v189
	v_add_f16_e32 v61, v62, v61
	v_fma_f16 v62, v199, 0xb8d2, -v67
	v_mul_f16_e64 v67, 0xb5c8, v174
	v_add_f16_e32 v39, v117, v39
	v_fma_f16 v119, 0x39e9, v195, v118
	v_fma_f16 v118, v195, 0x39e9, -v118
	v_add_f16_e32 v49, v62, v49
	v_fma_f16 v62, v192, 0xb461, -v241
	v_pack_b32_f16 v39, v39, v43
	v_add_f16_e32 v113, v119, v113
	v_mul_f16_e64 v119, 0xba62, v186
	v_add_f16_e32 v112, v118, v112
	v_add_f16_e32 v61, v62, v61
	v_fma_f16 v62, v195, 0x3b76, -v243
	v_mul_f16_e64 v118, 0xbbb2, v206
	v_fma_f16 v120, 0xb8d2, v196, v119
	v_fma_f16 v119, v196, 0xb8d2, -v119
	v_pack_b32_f16 v40, v40, v49
	v_add_f16_e32 v61, v62, v61
	v_fma_f16 v62, v196, 0x3722, -v244
	v_add_f16_e32 v113, v120, v113
	v_mul_f16_e64 v120, 0x35c8, v200
	v_add_f16_e32 v112, v119, v112
	v_pack_b32_f16 v24, v24, v89
	v_add_f16_e32 v61, v62, v61
	v_fma_f16 v62, v182, 0x3722, -v224
	v_fma_f16 v200, v162, 0x3b76, -v120
	v_fmac_f16_e64 v120, 0x3b76, v162
	s_delay_alu instid0(VALU_DEP_3) | instskip(NEXT) | instid1(VALU_DEP_3)
	v_add_f16_e64 v62, v160, v62
	v_add_f16_e64 v42, v200, v42
	v_mul_f16_e64 v200, 0x3b29, v193
	s_delay_alu instid0(VALU_DEP_3) | instskip(SKIP_1) | instid1(VALU_DEP_3)
	v_add_f16_e32 v62, v63, v62
	v_fma_f16 v63, v197, 0xbacd, -v246
	v_fma_f16 v121, 0x3722, v197, v200
	v_fma_f16 v119, v197, 0x3722, -v200
	s_delay_alu instid0(VALU_DEP_3) | instskip(NEXT) | instid1(VALU_DEP_3)
	v_add_f16_e32 v61, v63, v61
	v_add_f16_e32 v113, v121, v113
	v_mul_f16_e64 v121, 0xb836, v201
	v_fma_f16 v63, v192, 0xbbdd, -v227
	v_add_f16_e32 v112, v119, v112
	s_delay_alu instid0(VALU_DEP_3) | instskip(SKIP_1) | instid1(VALU_DEP_4)
	v_fma_f16 v201, v168, 0xbacd, -v121
	v_fmac_f16_e64 v121, 0xbacd, v168
	v_add_f16_e32 v62, v63, v62
	v_fma_f16 v63, v198, 0xb8d2, -v248
	s_delay_alu instid0(VALU_DEP_4) | instskip(SKIP_1) | instid1(VALU_DEP_3)
	v_add_f16_e64 v42, v201, v42
	v_mul_f16_e64 v201, 0xbbb2, v191
	v_add_f16_e32 v61, v63, v61
	v_fma_f16 v63, v195, 0xb461, -v228
	s_delay_alu instid0(VALU_DEP_3) | instskip(SKIP_1) | instid1(VALU_DEP_3)
	v_fma_f16 v122, 0xb461, v198, v201
	v_fma_f16 v119, v198, 0xb461, -v201
	v_add_f16_e32 v62, v63, v62
	v_fma_f16 v63, v199, 0x39e9, -v250
	s_delay_alu instid0(VALU_DEP_4)
	v_add_f16_e32 v113, v122, v113
	v_mul_f16_e64 v122, 0x3964, v202
	v_add_f16_e32 v112, v119, v112
	v_mov_b32_e32 v119, v130
	s_clause 0x3
	scratch_load_b32 v248, off, off offset:24
	scratch_load_b32 v130, off, off offset:16
	;; [unrolled: 1-line block ×4, first 2 shown]
	v_fma_f16 v202, v172, 0x39e9, -v122
	v_fmac_f16_e64 v122, 0x39e9, v172
	v_add_f16_e32 v61, v63, v61
	v_fma_f16 v63, v196, 0x39e9, -v229
	s_delay_alu instid0(VALU_DEP_4) | instskip(SKIP_1) | instid1(VALU_DEP_4)
	v_add_f16_e64 v42, v202, v42
	v_mul_f16_e64 v202, 0x3bf7, v204
	v_pack_b32_f16 v38, v38, v61
	s_delay_alu instid0(VALU_DEP_4) | instskip(SKIP_1) | instid1(VALU_DEP_4)
	v_add_f16_e32 v62, v63, v62
	v_fma_f16 v63, v197, 0x3b76, -v209
	v_fma_f16 v123, 0x2de8, v199, v202
	s_delay_alu instid0(VALU_DEP_2) | instskip(NEXT) | instid1(VALU_DEP_2)
	v_add_f16_e32 v62, v63, v62
	v_add_f16_e32 v113, v123, v113
	v_mul_f16_e64 v123, 0xba62, v203
	s_delay_alu instid0(VALU_DEP_3) | instskip(SKIP_1) | instid1(VALU_DEP_3)
	v_add_f16_e32 v62, v64, v62
	v_fma_f16 v64, v187, 0x2de8, -v35
	v_fma_f16 v203, v176, 0xb8d2, -v123
	v_fmac_f16_e64 v123, 0xb8d2, v176
	s_delay_alu instid0(VALU_DEP_4) | instskip(NEXT) | instid1(VALU_DEP_4)
	v_add_f16_e32 v62, v65, v62
	v_add_f16_e32 v51, v64, v51
	v_fma_f16 v64, v192, 0xb8d2, -v208
	v_add_f16_e64 v42, v203, v42
	s_delay_alu instid0(VALU_DEP_2) | instskip(SKIP_1) | instid1(VALU_DEP_1)
	v_add_f16_e32 v51, v64, v51
	v_fma_f16 v64, v195, 0xbbdd, -v210
	v_add_f16_e32 v51, v64, v51
	s_wait_loadcnt 0x4
	v_add_f16_e32 v114, v120, v114
	v_fma_f16 v120, v180, 0x3722, -v116
	v_fmac_f16_e64 v116, 0x3722, v180
	s_delay_alu instid0(VALU_DEP_3) | instskip(NEXT) | instid1(VALU_DEP_3)
	v_add_f16_e32 v114, v121, v114
	v_add_f16_e32 v42, v120, v42
	v_fma_f16 v120, v185, 0xb461, -v118
	v_fmac_f16_e64 v118, 0xb461, v185
	s_delay_alu instid0(VALU_DEP_4) | instskip(SKIP_3) | instid1(VALU_DEP_4)
	v_add_f16_e32 v114, v122, v114
	v_mov_b32_e32 v122, v138
	v_dual_mov_b32 v138, v163 :: v_dual_mov_b32 v255, v125
	v_mov_b32_e32 v125, v32
	v_add_f16_e32 v114, v123, v114
	v_mov_b32_e32 v123, v33
	v_add_f16_e32 v42, v120, v42
	v_dual_mov_b32 v120, v136 :: v_dual_mov_b32 v111, v131
	s_delay_alu instid0(VALU_DEP_4) | instskip(SKIP_3) | instid1(VALU_DEP_4)
	v_add_f16_e32 v114, v116, v114
	v_fma_f16 v116, v188, 0x2de8, -v90
	v_fmac_f16_e64 v90, 0x2de8, v188
	v_dual_mov_b32 v131, v221 :: v_dual_mov_b32 v136, v37
	v_add_f16_e32 v114, v118, v114
	v_mov_b32_e32 v118, v124
	v_dual_mov_b32 v124, v184 :: v_dual_mov_b32 v121, v139
	s_clause 0x3
	scratch_load_b32 v129, off, off offset:20
	scratch_load_b32 v139, off, off offset:12
	scratch_load_b32 v31, off, off offset:84 th:TH_LOAD_LU
	scratch_load_b32 v252, off, off offset:32
	v_add_f16_e32 v43, v90, v114
	scratch_load_b32 v90, off, off offset:44 ; 4-byte Folded Reload
	v_add_f16_e32 v42, v116, v42
	v_fma_f16 v116, v199, 0x2de8, -v202
	v_dual_mov_b32 v117, v133 :: v_dual_mov_b32 v114, v45
	s_delay_alu instid0(VALU_DEP_2)
	v_add_f16_e32 v112, v116, v112
	v_dual_mov_b32 v116, v126 :: v_dual_mov_b32 v133, v217
	v_mov_b32_e32 v126, v44
	s_wait_loadcnt 0x2
	v_add_f16_e64 v63, v230, v31
	scratch_load_b32 v31, off, off offset:72 th:TH_LOAD_LU ; 4-byte Folded Reload
	v_add_f16_e64 v63, v231, v63
	s_delay_alu instid0(VALU_DEP_1) | instskip(NEXT) | instid1(VALU_DEP_1)
	v_add_f16_e64 v63, v233, v63
	v_add_f16_e64 v63, v235, v63
	s_delay_alu instid0(VALU_DEP_1) | instskip(NEXT) | instid1(VALU_DEP_1)
	v_add_f16_e64 v63, v236, v63
	;; [unrolled: 3-line block ×3, first 2 shown]
	v_pack_b32_f16 v62, v63, v62
	s_wait_loadcnt 0x0
	v_add_f16_e64 v65, v214, v31
	scratch_load_b32 v31, off, off offset:96 th:TH_LOAD_LU ; 4-byte Folded Reload
	v_add_f16_e64 v65, v218, v65
	s_delay_alu instid0(VALU_DEP_1) | instskip(NEXT) | instid1(VALU_DEP_1)
	v_add_f16_e64 v65, v220, v65
	v_add_f16_e64 v65, v222, v65
	s_wait_loadcnt 0x0
	v_fma_f16 v64, v196, 0xbacd, -v31
	scratch_load_b32 v31, off, off offset:88 th:TH_LOAD_LU ; 4-byte Folded Reload
	v_add_f16_e32 v51, v64, v51
	s_wait_loadcnt 0x0
	v_fma_f16 v64, v197, 0xb461, -v31
	scratch_load_b32 v31, off, off offset:92 th:TH_LOAD_LU ; 4-byte Folded Reload
	v_add_f16_e32 v51, v64, v51
	;; [unrolled: 4-line block ×3, first 2 shown]
	v_add_f16_e64 v64, v223, v65
	v_add_f16_e64 v65, v161, v66
	s_delay_alu instid0(VALU_DEP_2) | instskip(NEXT) | instid1(VALU_DEP_2)
	v_add_f16_e64 v64, v226, v64
	v_add_f16_e64 v65, v155, v65
	s_delay_alu instid0(VALU_DEP_2) | instskip(NEXT) | instid1(VALU_DEP_2)
	v_add_f16_e32 v36, v36, v64
	v_add_f16_e64 v65, v154, v65
	s_delay_alu instid0(VALU_DEP_1) | instskip(NEXT) | instid1(VALU_DEP_1)
	v_add_f16_e64 v65, v149, v65
	v_add_f16_e64 v65, v159, v65
	s_delay_alu instid0(VALU_DEP_1) | instskip(NEXT) | instid1(VALU_DEP_1)
	v_add_f16_e64 v65, v153, v65
	v_add_f16_e64 v65, v152, v65
	s_delay_alu instid0(VALU_DEP_1) | instskip(NEXT) | instid1(VALU_DEP_1)
	v_add_f16_e64 v65, v147, v65
	v_add_f16_e64 v65, v158, v65
	s_delay_alu instid0(VALU_DEP_1) | instskip(NEXT) | instid1(VALU_DEP_1)
	v_add_f16_e64 v65, v150, v65
	v_add_f16_e64 v65, v148, v65
	s_delay_alu instid0(VALU_DEP_1) | instskip(NEXT) | instid1(VALU_DEP_1)
	v_add_f16_e64 v65, v146, v65
	v_add_f16_e64 v65, v213, v65
	s_wait_loadcnt 0x0
	v_fma_f16 v66, v199, 0x3b76, -v31
	scratch_load_b32 v31, off, off offset:124 th:TH_LOAD_LU ; 4-byte Folded Reload
	v_add_f16_e32 v51, v66, v51
	s_delay_alu instid0(VALU_DEP_1)
	v_pack_b32_f16 v36, v36, v51
	s_wait_loadcnt 0x0
	v_sub_f16_e32 v67, v31, v67
	scratch_load_b32 v31, off, off offset:148 th:TH_LOAD_LU ; 4-byte Folded Reload
	v_add_f16_e64 v67, v160, v67
	s_wait_loadcnt 0x0
	v_sub_f16_e32 v70, v31, v70
	scratch_load_b32 v31, off, off offset:116 th:TH_LOAD_LU ; 4-byte Folded Reload
	v_add_f16_e32 v67, v70, v67
	v_mul_f16_e64 v70, 0xbb29, v183
	s_wait_loadcnt 0x0
	v_add_f16_e32 v77, v77, v31
	scratch_load_b32 v31, off, off offset:152 th:TH_LOAD_LU ; 4-byte Folded Reload
	s_wait_loadcnt 0x0
	v_sub_f16_e32 v70, v31, v70
	scratch_load_b32 v31, off, off offset:60 th:TH_LOAD_LU ; 4-byte Folded Reload
	v_add_f16_e32 v67, v70, v67
	v_mul_f16_e64 v70, 0xbbf7, v189
	s_wait_loadcnt 0x0
	v_add_f16_e32 v35, v77, v31
	scratch_load_b32 v31, off, off offset:120 th:TH_LOAD_LU ; 4-byte Folded Reload
	v_mul_f16_e64 v77, 0x3722, v168
	s_wait_loadcnt 0x0
	s_delay_alu instid0(VALU_DEP_1)
	v_add_f16_e32 v77, v77, v31
	scratch_load_b32 v31, off, off offset:156 th:TH_LOAD_LU ; 4-byte Folded Reload
	v_add_f16_e32 v35, v77, v35
	v_mul_f16_e64 v77, 0x2de8, v172
	s_wait_loadcnt 0x0
	v_sub_f16_e32 v70, v31, v70
	scratch_load_b32 v31, off, off offset:128 th:TH_LOAD_LU ; 4-byte Folded Reload
	v_add_f16_e32 v67, v70, v67
	v_mul_f16_e64 v70, 0xbbb2, v186
	s_wait_loadcnt 0x0
	v_add_f16_e32 v77, v77, v31
	scratch_load_b32 v31, off, off offset:164 th:TH_LOAD_LU ; 4-byte Folded Reload
	v_add_f16_e32 v35, v77, v35
	v_mul_f16_e64 v77, 0xb461, v176
	s_wait_loadcnt 0x0
	v_sub_f16_e32 v70, v31, v70
	scratch_load_b32 v31, off, off offset:140 th:TH_LOAD_LU ; 4-byte Folded Reload
	v_add_f16_e32 v67, v70, v67
	v_mul_f16_e64 v70, 0xba62, v193
	s_wait_loadcnt 0x0
	;; [unrolled: 10-line block ×3, first 2 shown]
	v_add_f16_e32 v77, v77, v31
	scratch_load_b32 v31, off, off offset:168 th:TH_LOAD_LU ; 4-byte Folded Reload
	v_add_f16_e32 v35, v77, v35
	v_mul_f16_e64 v77, 0xbacd, v185
	s_wait_loadcnt 0x0
	v_sub_f16_e32 v70, v31, v70
	scratch_load_b32 v31, off, off offset:144 th:TH_LOAD_LU ; 4-byte Folded Reload
	v_add_f16_e32 v67, v70, v67
	v_mul_f16_e64 v70, 0xb1e1, v204
	s_delay_alu instid0(VALU_DEP_1) | instskip(NEXT) | instid1(VALU_DEP_1)
	v_sub_f16_e64 v70, v165, v70
	v_add_f16_e32 v67, v70, v67
	v_dual_mov_b32 v253, v134 :: v_dual_and_b32 v70, 0xffff, v34
	s_delay_alu instid0(VALU_DEP_1)
	v_lshlrev_b32_e32 v64, 2, v70
	s_wait_loadcnt 0x0
	v_add_f16_e32 v77, v77, v31
	scratch_load_b32 v31, off, off offset:48 th:TH_LOAD_LU ; 4-byte Folded Reload
	v_add_f16_e32 v35, v77, v35
	v_mul_f16_e64 v77, 0xbbdd, v188
	s_delay_alu instid0(VALU_DEP_1) | instskip(NEXT) | instid1(VALU_DEP_1)
	v_add_f16_e32 v77, v77, v79
	v_add_f16_e32 v35, v77, v35
	s_delay_alu instid0(VALU_DEP_1) | instskip(SKIP_2) | instid1(VALU_DEP_1)
	v_pack_b32_f16 v35, v35, v67
	s_wait_loadcnt 0x0
	v_add_f16_e64 v31, v142, v31
	v_pack_b32_f16 v31, v31, v65
	ds_store_2addr_b32 v64, v31, v35 offset1:1
	ds_store_2addr_b32 v64, v36, v62 offset0:2 offset1:3
	ds_store_2addr_b32 v64, v38, v40 offset0:4 offset1:5
	;; [unrolled: 1-line block ×3, first 2 shown]
	s_clause 0x1
	scratch_load_b32 v32, off, off offset:112 th:TH_LOAD_LU
	scratch_load_b32 v33, off, off offset:136 th:TH_LOAD_LU
	v_pack_b32_f16 v31, v42, v113
	v_mov_b32_e32 v113, v46
	v_pack_b32_f16 v35, v43, v112
	v_mov_b32_e32 v112, v47
	s_wait_loadcnt 0x0
	v_pack_b32_f16 v36, v33, v32
	s_clause 0x1
	scratch_load_b32 v32, off, off offset:76 th:TH_LOAD_LU
	scratch_load_b32 v33, off, off offset:100 th:TH_LOAD_LU
	s_wait_loadcnt 0x0
	v_pack_b32_f16 v38, v33, v32
	s_clause 0x1
	scratch_load_b32 v32, off, off offset:104 th:TH_LOAD_LU
	scratch_load_b32 v33, off, off offset:108 th:TH_LOAD_LU
	;; [unrolled: 5-line block ×4, first 2 shown]
	s_wait_loadcnt 0x0
	v_pack_b32_f16 v33, v34, v33
	v_perm_b32 v34, v170, v143, 0x5040100
	ds_store_2addr_b32 v64, v35, v31 offset0:8 offset1:9
	ds_store_2addr_b32 v64, v24, v36 offset0:10 offset1:11
	;; [unrolled: 1-line block ×4, first 2 shown]
	ds_store_b32 v64, v34 offset:64
.LBB0_17:
	s_wait_alu 0xfffe
	s_or_b32 exec_lo, exec_lo, s1
	v_add_nc_u32_e32 v24, 0xe00, v52
	global_wb scope:SCOPE_SE
	s_wait_storecnt_dscnt 0x0
	s_barrier_signal -1
	s_barrier_wait -1
	global_inv scope:SCOPE_SE
	ds_load_2addr_b32 v[33:34], v24 offset0:56 offset1:175
	v_add_nc_u32_e32 v47, 0x200, v52
	v_add_nc_u32_e32 v49, 0x1200, v52
	;; [unrolled: 1-line block ×3, first 2 shown]
	ds_load_2addr_b32 v[31:32], v52 offset1:119
	ds_load_2addr_b32 v[35:36], v47 offset0:110 offset1:229
	ds_load_2addr_b32 v[37:38], v49 offset0:38 offset1:157
	;; [unrolled: 1-line block ×3, first 2 shown]
	v_add_nc_u32_e32 v61, 0x1600, v52
	v_add_nc_u32_e32 v62, 0xa00, v52
	;; [unrolled: 1-line block ×3, first 2 shown]
	ds_load_2addr_b32 v[41:42], v61 offset0:20 offset1:139
	ds_load_2addr_b32 v[43:44], v62 offset0:74 offset1:193
	;; [unrolled: 1-line block ×3, first 2 shown]
	global_wb scope:SCOPE_SE
	s_wait_dscnt 0x0
	s_barrier_signal -1
	s_barrier_wait -1
	global_inv scope:SCOPE_SE
	v_lshrrev_b32_e32 v66, 16, v33
	v_lshrrev_b32_e32 v67, 16, v34
	;; [unrolled: 1-line block ×4, first 2 shown]
	s_delay_alu instid0(VALU_DEP_4)
	v_mul_f16_e32 v85, v87, v66
	v_mul_f16_e32 v87, v87, v33
	v_lshrrev_b32_e32 v79, 16, v38
	v_lshrrev_b32_e32 v65, 16, v32
	;; [unrolled: 1-line block ×3, first 2 shown]
	v_fmac_f16_e32 v85, v60, v33
	v_mul_f16_e64 v33, v252, v67
	v_fma_f16 v60, v60, v66, -v87
	v_mul_f16_e32 v87, v90, v77
	v_mul_f16_e32 v90, v90, v37
	v_lshrrev_b32_e32 v81, 16, v41
	v_lshrrev_b32_e32 v83, 16, v42
	v_mul_f16_e64 v66, v252, v34
	v_fmac_f16_e32 v33, v59, v34
	v_mul_f16_e64 v34, v251, v79
	v_fmac_f16_e32 v87, v58, v37
	v_fma_f16 v37, v58, v77, -v90
	v_mul_f16_e64 v58, v251, v38
	v_lshrrev_b32_e32 v86, 16, v45
	v_lshrrev_b32_e32 v89, 16, v46
	v_fma_f16 v59, v59, v67, -v66
	v_fmac_f16_e32 v34, v57, v38
	v_mul_f16_e64 v38, v250, v81
	v_mul_f16_e64 v66, v250, v41
	;; [unrolled: 1-line block ×3, first 2 shown]
	v_fma_f16 v57, v57, v79, -v58
	v_mul_f16_e64 v58, v136, v42
	v_fmac_f16_e32 v38, v56, v41
	v_fma_f16 v41, v56, v81, -v66
	v_fmac_f16_e32 v67, v55, v42
	v_mul_f16_e64 v42, v139, v86
	v_fma_f16 v55, v55, v83, -v58
	v_mul_f16_e64 v58, v130, v89
	v_mul_f16_e64 v66, v130, v46
	;; [unrolled: 1-line block ×3, first 2 shown]
	v_fmac_f16_e32 v42, v54, v45
	v_sub_f16_e32 v45, v31, v85
	v_fmac_f16_e32 v58, v53, v46
	v_fma_f16 v46, v53, v89, -v66
	v_sub_f16_e32 v53, v64, v60
	v_fma_f16 v54, v54, v86, -v56
	v_sub_f16_e32 v33, v32, v33
	v_sub_f16_e32 v56, v65, v59
	v_fma_f16 v31, v31, 2.0, -v45
	v_fma_f16 v60, v64, 2.0, -v53
	v_pack_b32_f16 v45, v45, v53
	v_fma_f16 v32, v32, 2.0, -v33
	v_fma_f16 v64, v65, 2.0, -v56
	v_lshrrev_b32_e32 v78, 16, v36
	v_pack_b32_f16 v31, v31, v60
	v_lshrrev_b32_e32 v80, 16, v39
	v_pack_b32_f16 v33, v33, v56
	v_pack_b32_f16 v32, v32, v64
	ds_store_2addr_b32 v91, v31, v45 offset1:17
	ds_store_2addr_b32 v92, v32, v33 offset1:17
	v_sub_f16_e32 v37, v70, v37
	v_sub_f16_e32 v34, v36, v34
	;; [unrolled: 1-line block ×5, first 2 shown]
	scratch_load_b32 v31, off, off offset:4 th:TH_LOAD_LU ; 4-byte Folded Reload
	v_fma_f16 v65, v70, 2.0, -v37
	v_fma_f16 v36, v36, 2.0, -v34
	v_pack_b32_f16 v32, v34, v57
	v_fma_f16 v70, v80, 2.0, -v41
	v_pack_b32_f16 v34, v38, v41
	scratch_load_b32 v41, off, off th:TH_LOAD_LU ; 4-byte Folded Reload
	v_sub_f16_e32 v59, v35, v87
	v_lshrrev_b32_e32 v82, 16, v40
	v_lshrrev_b32_e32 v84, 16, v43
	;; [unrolled: 1-line block ×3, first 2 shown]
	v_sub_f16_e32 v66, v40, v67
	v_fma_f16 v35, v35, 2.0, -v59
	v_sub_f16_e32 v55, v82, v55
	v_sub_f16_e32 v42, v43, v42
	;; [unrolled: 1-line block ×5, first 2 shown]
	v_fma_f16 v67, v78, 2.0, -v57
	v_pack_b32_f16 v35, v35, v65
	v_pack_b32_f16 v37, v59, v37
	v_fma_f16 v39, v39, 2.0, -v38
	v_fma_f16 v40, v40, 2.0, -v66
	;; [unrolled: 1-line block ×7, first 2 shown]
	v_pack_b32_f16 v33, v39, v70
	v_pack_b32_f16 v38, v42, v54
	v_lshrrev_b32_e32 v65, 16, v76
	v_lshrrev_b32_e32 v70, 16, v75
	v_pack_b32_f16 v39, v44, v79
	s_wait_loadcnt 0x1
	ds_store_2addr_b32 v31, v35, v37 offset1:17
	v_pack_b32_f16 v31, v36, v67
	v_pack_b32_f16 v35, v40, v77
	v_pack_b32_f16 v36, v66, v55
	v_pack_b32_f16 v37, v43, v78
	v_pack_b32_f16 v40, v58, v46
	s_wait_loadcnt 0x0
	ds_store_2addr_b32 v41, v31, v32 offset1:17
	ds_store_2addr_b32 v248, v33, v34 offset1:17
	;; [unrolled: 1-line block ×5, first 2 shown]
	global_wb scope:SCOPE_SE
	s_wait_dscnt 0x0
	s_barrier_signal -1
	s_barrier_wait -1
	global_inv scope:SCOPE_SE
	ds_load_2addr_b32 v[31:32], v52 offset1:119
	ds_load_2addr_b32 v[33:34], v24 offset0:56 offset1:175
	ds_load_2addr_b32 v[35:36], v47 offset0:110 offset1:229
	ds_load_2addr_b32 v[37:38], v49 offset0:38 offset1:157
	ds_load_2addr_b32 v[39:40], v51 offset0:92 offset1:211
	ds_load_2addr_b32 v[41:42], v61 offset0:20 offset1:139
	ds_load_2addr_b32 v[43:44], v62 offset0:74 offset1:193
	ds_load_2addr_b32 v[45:46], v63 offset0:130 offset1:249
	v_lshrrev_b32_e32 v77, 16, v73
	global_wb scope:SCOPE_SE
	s_wait_dscnt 0x0
	s_barrier_signal -1
	s_barrier_wait -1
	global_inv scope:SCOPE_SE
	v_lshrrev_b32_e32 v24, 16, v31
	v_lshrrev_b32_e32 v47, 16, v33
	;; [unrolled: 1-line block ×6, first 2 shown]
	v_mul_f16_e32 v62, v65, v47
	v_mul_f16_e32 v65, v65, v33
	v_lshrrev_b32_e32 v60, 16, v42
	v_lshrrev_b32_e32 v64, 16, v45
	;; [unrolled: 1-line block ×3, first 2 shown]
	v_fmac_f16_e32 v62, v76, v33
	v_fma_f16 v47, v76, v47, -v65
	v_lshrrev_b32_e32 v76, 16, v74
	v_mul_f16_e32 v33, v70, v51
	v_mul_f16_e32 v65, v70, v34
	v_lshrrev_b32_e32 v49, 16, v32
	v_lshrrev_b32_e32 v53, 16, v35
	v_mul_f16_e32 v70, v76, v54
	v_mul_f16_e32 v76, v76, v37
	v_fmac_f16_e32 v33, v75, v34
	v_mul_f16_e32 v34, v77, v56
	v_fma_f16 v51, v75, v51, -v65
	v_lshrrev_b32_e32 v65, 16, v72
	v_fmac_f16_e32 v70, v74, v37
	v_fma_f16 v37, v74, v54, -v76
	v_mul_f16_e32 v54, v77, v38
	v_fmac_f16_e32 v34, v73, v38
	v_mul_f16_e32 v38, v65, v58
	v_mul_f16_e32 v65, v65, v41
	v_mul_f16_e64 v74, v255, v60
	v_fma_f16 v54, v73, v56, -v54
	v_mul_f16_e64 v56, v255, v42
	v_fmac_f16_e32 v38, v72, v41
	v_fma_f16 v41, v72, v58, -v65
	v_fmac_f16_e32 v74, v71, v42
	v_mul_f16_e64 v42, v254, v64
	v_mul_f16_e64 v58, v254, v45
	v_fma_f16 v56, v71, v60, -v56
	v_mul_f16_e64 v60, v253, v67
	v_mul_f16_e64 v65, v253, v46
	v_lshrrev_b32_e32 v55, 16, v36
	v_sub_f16_e32 v62, v31, v62
	v_sub_f16_e32 v47, v24, v47
	v_lshrrev_b32_e32 v57, 16, v39
	v_fmac_f16_e32 v42, v69, v45
	v_fma_f16 v45, v69, v64, -v58
	v_sub_f16_e32 v33, v32, v33
	v_sub_f16_e32 v58, v49, v51
	v_lshrrev_b32_e32 v59, 16, v40
	v_sub_f16_e32 v64, v35, v70
	v_sub_f16_e32 v37, v53, v37
	v_lshrrev_b32_e32 v61, 16, v43
	v_lshrrev_b32_e32 v66, 16, v44
	v_fmac_f16_e32 v60, v68, v46
	v_fma_f16 v46, v68, v67, -v65
	v_fma_f16 v31, v31, 2.0, -v62
	v_fma_f16 v24, v24, 2.0, -v47
	v_sub_f16_e32 v34, v36, v34
	v_sub_f16_e32 v54, v55, v54
	v_fma_f16 v32, v32, 2.0, -v33
	v_fma_f16 v49, v49, 2.0, -v58
	v_sub_f16_e32 v38, v39, v38
	v_sub_f16_e32 v41, v57, v41
	;; [unrolled: 4-line block ×3, first 2 shown]
	v_sub_f16_e32 v42, v43, v42
	v_sub_f16_e32 v68, v61, v45
	;; [unrolled: 1-line block ×4, first 2 shown]
	v_fma_f16 v36, v36, 2.0, -v34
	v_fma_f16 v55, v55, 2.0, -v54
	v_pack_b32_f16 v24, v31, v24
	v_pack_b32_f16 v31, v62, v47
	v_fma_f16 v39, v39, 2.0, -v38
	v_fma_f16 v57, v57, 2.0, -v41
	v_pack_b32_f16 v32, v32, v49
	v_pack_b32_f16 v33, v33, v58
	;; [unrolled: 4-line block ×3, first 2 shown]
	v_fma_f16 v43, v43, 2.0, -v42
	v_fma_f16 v60, v61, 2.0, -v68
	;; [unrolled: 1-line block ×4, first 2 shown]
	ds_store_2addr_b32 v94, v24, v31 offset1:34
	ds_store_2addr_b32 v98, v32, v33 offset1:34
	;; [unrolled: 1-line block ×3, first 2 shown]
	v_pack_b32_f16 v24, v36, v55
	v_pack_b32_f16 v31, v34, v54
	;; [unrolled: 1-line block ×10, first 2 shown]
	ds_store_2addr_b32 v95, v24, v31 offset1:34
	ds_store_2addr_b32 v96, v32, v33 offset1:34
	;; [unrolled: 1-line block ×5, first 2 shown]
	v_add_nc_u32_e32 v24, 0x400, v52
	v_add_nc_u32_e32 v33, 0x800, v52
	;; [unrolled: 1-line block ×5, first 2 shown]
	global_wb scope:SCOPE_SE
	s_wait_dscnt 0x0
	s_barrier_signal -1
	s_barrier_wait -1
	global_inv scope:SCOPE_SE
	ds_load_2addr_b32 v[31:32], v52 offset1:119
	ds_load_2addr_b32 v[43:44], v24 offset0:16 offset1:135
	ds_load_2addr_b32 v[41:42], v33 offset0:32 offset1:151
	;; [unrolled: 1-line block ×6, first 2 shown]
	s_and_saveexec_b32 s1, s0
	s_cbranch_execz .LBB0_19
; %bb.18:
	ds_load_b32 v45, v52 offset:952
	ds_load_b32 v51, v52 offset:2040
	;; [unrolled: 1-line block ×7, first 2 shown]
	s_wait_dscnt 0x6
	v_lshrrev_b32_e32 v46, 16, v45
	s_wait_dscnt 0x5
	v_lshrrev_b32_e32 v53, 16, v51
	;; [unrolled: 2-line block ×7, first 2 shown]
.LBB0_19:
	s_wait_alu 0xfffe
	s_or_b32 exec_lo, exec_lo, s1
	s_wait_dscnt 0x4
	v_lshrrev_b32_e32 v49, 16, v41
	v_lshrrev_b32_e32 v67, 16, v9
	;; [unrolled: 1-line block ×4, first 2 shown]
	s_wait_dscnt 0x2
	v_lshrrev_b32_e32 v55, 16, v37
	s_wait_dscnt 0x1
	v_lshrrev_b32_e32 v56, 16, v35
	v_mul_f16_e32 v66, v67, v49
	v_mul_f16_e32 v67, v67, v41
	;; [unrolled: 1-line block ×4, first 2 shown]
	v_lshrrev_b32_e32 v54, 16, v39
	v_fmac_f16_e32 v66, v9, v41
	v_fma_f16 v9, v9, v49, -v67
	v_lshrrev_b32_e32 v49, 16, v11
	v_lshrrev_b32_e32 v67, 16, v27
	v_fmac_f16_e32 v64, v8, v43
	v_fma_f16 v8, v8, v47, -v65
	v_lshrrev_b32_e32 v43, 16, v10
	v_mul_f16_e32 v47, v49, v55
	v_mul_f16_e32 v49, v49, v37
	;; [unrolled: 1-line block ×3, first 2 shown]
	s_wait_dscnt 0x0
	v_lshrrev_b32_e32 v57, 16, v33
	v_lshrrev_b32_e32 v59, 16, v44
	v_mul_f16_e32 v41, v43, v54
	v_mul_f16_e32 v43, v43, v39
	v_fmac_f16_e32 v47, v11, v37
	v_fma_f16 v11, v11, v55, -v49
	v_fmac_f16_e32 v65, v27, v35
	v_mul_f16_e32 v35, v67, v35
	v_lshrrev_b32_e32 v49, 16, v4
	v_lshrrev_b32_e32 v60, 16, v42
	;; [unrolled: 1-line block ×3, first 2 shown]
	v_fmac_f16_e32 v41, v10, v39
	v_fma_f16 v10, v10, v54, -v43
	v_mul_f16_e64 v37, v138, v57
	v_mul_f16_e32 v43, v49, v59
	v_mul_f16_e32 v49, v49, v44
	v_fma_f16 v27, v27, v56, -v35
	v_lshrrev_b32_e32 v35, 16, v5
	v_lshrrev_b32_e32 v61, 16, v40
	;; [unrolled: 1-line block ×4, first 2 shown]
	v_mul_f16_e64 v39, v138, v33
	v_fmac_f16_e32 v37, v28, v33
	v_fmac_f16_e32 v43, v4, v44
	v_fma_f16 v4, v4, v59, -v49
	v_mul_f16_e32 v33, v35, v60
	v_mul_f16_e32 v35, v35, v42
	v_lshrrev_b32_e32 v44, 16, v6
	v_mul_f16_e32 v49, v127, v62
	v_fma_f16 v28, v28, v57, -v39
	v_fmac_f16_e32 v33, v5, v42
	v_fma_f16 v5, v5, v60, -v35
	v_mul_f16_e32 v39, v44, v61
	v_mul_f16_e32 v44, v44, v40
	v_fmac_f16_e32 v49, v7, v38
	v_mul_f16_e32 v35, v127, v38
	v_mul_f16_e32 v38, v124, v63
	;; [unrolled: 1-line block ×3, first 2 shown]
	v_fmac_f16_e32 v39, v6, v40
	v_fma_f16 v6, v6, v61, -v44
	v_mul_f16_e32 v40, v124, v36
	v_mul_f16_e32 v44, v122, v34
	v_fma_f16 v7, v7, v62, -v35
	v_fmac_f16_e32 v38, v29, v36
	v_fmac_f16_e32 v42, v30, v34
	v_add_f16_e32 v34, v64, v37
	v_add_f16_e32 v35, v8, v28
	v_sub_f16_e32 v36, v64, v37
	v_sub_f16_e32 v8, v8, v28
	v_add_f16_e32 v28, v66, v65
	v_add_f16_e32 v37, v9, v27
	v_fma_f16 v29, v29, v63, -v40
	v_fma_f16 v30, v30, v68, -v44
	v_sub_f16_e32 v40, v66, v65
	v_sub_f16_e32 v9, v9, v27
	v_add_f16_e32 v27, v41, v47
	v_add_f16_e32 v44, v10, v11
	v_sub_f16_e32 v41, v47, v41
	v_sub_f16_e32 v10, v11, v10
	v_add_f16_e32 v11, v28, v34
	v_add_f16_e32 v47, v37, v35
	v_lshrrev_b32_e32 v24, 16, v31
	v_sub_f16_e32 v54, v28, v34
	v_sub_f16_e32 v55, v37, v35
	;; [unrolled: 1-line block ×6, first 2 shown]
	v_add_f16_e32 v56, v41, v40
	v_add_f16_e32 v57, v10, v9
	v_sub_f16_e32 v59, v41, v40
	v_sub_f16_e32 v60, v10, v9
	;; [unrolled: 1-line block ×3, first 2 shown]
	v_add_f16_e32 v11, v27, v11
	v_add_f16_e32 v27, v44, v47
	v_sub_f16_e32 v9, v9, v8
	v_sub_f16_e32 v41, v36, v41
	;; [unrolled: 1-line block ×3, first 2 shown]
	v_add_f16_e32 v36, v56, v36
	v_add_f16_e32 v8, v57, v8
	v_add_f16_e32 v31, v31, v11
	v_add_f16_e32 v24, v24, v27
	v_mul_f16_e32 v34, 0x3a52, v34
	v_mul_f16_e32 v35, 0x3a52, v35
	;; [unrolled: 1-line block ×8, first 2 shown]
	v_fmamk_f16 v11, v11, 0xbcab, v31
	v_fmamk_f16 v27, v27, 0xbcab, v24
	;; [unrolled: 1-line block ×4, first 2 shown]
	v_fma_f16 v44, v54, 0x39e0, -v44
	v_fma_f16 v47, v55, 0x39e0, -v47
	;; [unrolled: 1-line block ×4, first 2 shown]
	v_fmamk_f16 v54, v41, 0xb574, v56
	v_fmamk_f16 v55, v10, 0xb574, v57
	v_fma_f16 v41, v41, 0x3574, -v59
	v_fma_f16 v10, v10, 0x3574, -v60
	;; [unrolled: 1-line block ×4, first 2 shown]
	v_add_f16_e32 v28, v28, v11
	v_add_f16_e32 v37, v37, v27
	;; [unrolled: 1-line block ×6, first 2 shown]
	v_fmac_f16_e32 v54, 0xb70e, v36
	v_fmac_f16_e32 v55, 0xb70e, v8
	;; [unrolled: 1-line block ×6, first 2 shown]
	v_add_f16_e32 v8, v55, v28
	v_sub_f16_e32 v34, v37, v54
	v_add_f16_e32 v35, v10, v11
	v_sub_f16_e32 v36, v27, v41
	v_sub_f16_e32 v10, v11, v10
	v_add_f16_e32 v11, v41, v27
	v_sub_f16_e32 v27, v28, v55
	v_add_f16_e32 v28, v54, v37
	v_add_f16_e32 v37, v43, v42
	;; [unrolled: 1-line block ×3, first 2 shown]
	v_sub_f16_e32 v42, v43, v42
	v_sub_f16_e32 v4, v4, v30
	v_add_f16_e32 v30, v33, v38
	v_add_f16_e32 v43, v5, v29
	v_sub_f16_e32 v56, v44, v9
	v_add_f16_e32 v9, v9, v44
	v_sub_f16_e32 v33, v33, v38
	v_sub_f16_e32 v5, v5, v29
	v_add_f16_e32 v29, v39, v49
	v_add_f16_e32 v38, v6, v7
	v_sub_f16_e32 v39, v49, v39
	v_sub_f16_e32 v6, v7, v6
	v_add_f16_e32 v7, v30, v37
	v_add_f16_e32 v44, v43, v41
	v_lshrrev_b32_e32 v58, 16, v32
	v_add_f16_e32 v57, v40, v47
	v_sub_f16_e32 v40, v47, v40
	v_sub_f16_e32 v47, v30, v37
	;; [unrolled: 1-line block ×7, first 2 shown]
	v_add_f16_e32 v54, v39, v33
	v_add_f16_e32 v55, v6, v5
	v_sub_f16_e32 v59, v39, v33
	v_sub_f16_e32 v60, v6, v5
	v_add_f16_e32 v7, v29, v7
	v_add_f16_e32 v29, v38, v44
	v_sub_f16_e32 v33, v33, v42
	v_sub_f16_e32 v5, v5, v4
	;; [unrolled: 1-line block ×4, first 2 shown]
	v_add_f16_e32 v38, v54, v42
	v_add_f16_e32 v4, v55, v4
	;; [unrolled: 1-line block ×4, first 2 shown]
	v_mul_f16_e32 v37, 0x3a52, v37
	v_mul_f16_e32 v41, 0x3a52, v41
	v_mul_f16_e32 v44, 0x2b26, v30
	v_mul_f16_e32 v54, 0x2b26, v43
	v_mul_f16_e32 v55, 0x3846, v59
	v_mul_f16_e32 v58, 0x3846, v60
	v_mul_f16_e32 v59, 0xbb00, v33
	v_mul_f16_e32 v60, 0xbb00, v5
	v_fmamk_f16 v7, v7, 0xbcab, v32
	v_fmamk_f16 v29, v29, 0xbcab, v42
	v_fmamk_f16 v30, v30, 0x2b26, v37
	v_fmamk_f16 v43, v43, 0x2b26, v41
	v_fma_f16 v44, v47, 0x39e0, -v44
	v_fma_f16 v54, v49, 0x39e0, -v54
	;; [unrolled: 1-line block ×4, first 2 shown]
	v_fmamk_f16 v47, v39, 0xb574, v55
	v_fmamk_f16 v49, v6, 0xb574, v58
	v_fma_f16 v33, v33, 0xbb00, -v55
	v_fma_f16 v5, v5, 0xbb00, -v58
	;; [unrolled: 1-line block ×4, first 2 shown]
	v_add_f16_e32 v30, v30, v7
	v_add_f16_e32 v43, v43, v29
	v_fmac_f16_e32 v47, 0xb70e, v38
	v_fmac_f16_e32 v49, 0xb70e, v4
	v_add_f16_e32 v44, v44, v7
	v_add_f16_e32 v54, v54, v29
	;; [unrolled: 1-line block ×4, first 2 shown]
	v_fmac_f16_e32 v33, 0xb70e, v38
	v_fmac_f16_e32 v6, 0xb70e, v4
	;; [unrolled: 1-line block ×4, first 2 shown]
	v_pack_b32_f16 v24, v31, v24
	v_pack_b32_f16 v8, v8, v34
	v_add_f16_e32 v4, v49, v30
	v_sub_f16_e32 v37, v43, v47
	v_pack_b32_f16 v31, v35, v36
	v_pack_b32_f16 v34, v56, v57
	v_add_f16_e32 v38, v6, v7
	v_sub_f16_e32 v41, v29, v39
	v_sub_f16_e32 v55, v44, v5
	v_add_f16_e32 v58, v33, v54
	v_pack_b32_f16 v9, v9, v40
	v_pack_b32_f16 v10, v10, v11
	v_add_nc_u32_e32 v11, 0x400, v107
	v_add_f16_e32 v5, v5, v44
	v_sub_f16_e32 v33, v54, v33
	v_sub_f16_e32 v6, v7, v6
	v_add_f16_e32 v7, v39, v29
	v_sub_f16_e32 v29, v30, v49
	v_add_f16_e32 v30, v47, v43
	global_wb scope:SCOPE_SE
	s_barrier_signal -1
	s_barrier_wait -1
	global_inv scope:SCOPE_SE
	ds_store_2addr_b32 v107, v24, v8 offset1:68
	ds_store_2addr_b32 v107, v31, v34 offset0:136 offset1:204
	ds_store_2addr_b32 v11, v9, v10 offset0:16 offset1:84
	v_pack_b32_f16 v8, v27, v28
	v_pack_b32_f16 v9, v32, v42
	v_pack_b32_f16 v4, v4, v37
	v_pack_b32_f16 v10, v38, v41
	v_pack_b32_f16 v11, v55, v58
	v_pack_b32_f16 v5, v5, v33
	v_pack_b32_f16 v6, v6, v7
	v_add_nc_u32_e32 v7, 0x400, v106
	v_pack_b32_f16 v24, v29, v30
	ds_store_b32 v107, v8 offset:1632
	ds_store_2addr_b32 v106, v9, v4 offset1:68
	ds_store_2addr_b32 v106, v10, v11 offset0:136 offset1:204
	ds_store_2addr_b32 v7, v5, v6 offset0:16 offset1:84
	ds_store_b32 v106, v24 offset:1632
	s_and_saveexec_b32 s1, s0
	s_cbranch_execz .LBB0_21
; %bb.20:
	v_mul_f16_e32 v4, v108, v53
	v_mul_f16_e64 v7, v104, v170
	v_mul_f16_e64 v8, v105, v137
	;; [unrolled: 1-line block ×3, first 2 shown]
	v_mul_f16_e32 v29, v108, v51
	v_mul_f16_e64 v30, v105, v135
	v_mul_f16_e64 v31, v104, v143
	;; [unrolled: 1-line block ×4, first 2 shown]
	v_mul_f16_e32 v9, v109, v123
	v_fmac_f16_e64 v7, v1, v143
	v_fmac_f16_e64 v8, v25, v135
	v_fmac_f16_e32 v4, v0, v51
	v_fma_f16 v24, v26, v123, -v24
	v_fma_f16 v0, v0, v53, -v29
	v_mul_f16_e32 v29, v102, v125
	v_mul_f16_e64 v32, v103, v128
	v_fma_f16 v25, v25, v137, -v30
	v_fma_f16 v1, v1, v170, -v31
	v_fmac_f16_e64 v5, v3, v128
	v_fmac_f16_e32 v6, v2, v125
	v_fmac_f16_e64 v9, v26, v140
	v_add_f16_e32 v30, v24, v0
	v_fma_f16 v2, v2, v131, -v29
	v_fma_f16 v3, v3, v133, -v32
	v_add_f16_e32 v29, v25, v1
	v_sub_f16_e32 v11, v7, v8
	v_sub_f16_e32 v27, v4, v9
	v_add_f16_e32 v4, v9, v4
	v_add_f16_e32 v32, v2, v3
	;; [unrolled: 1-line block ×4, first 2 shown]
	v_sub_f16_e32 v10, v5, v6
	v_add_f16_e32 v5, v6, v5
	v_sub_f16_e32 v34, v30, v32
	v_add_f16_e32 v33, v32, v33
	;; [unrolled: 2-line block ×3, first 2 shown]
	v_sub_f16_e32 v35, v4, v5
	v_sub_f16_e32 v2, v3, v2
	;; [unrolled: 1-line block ×4, first 2 shown]
	v_add_f16_e32 v32, v5, v32
	v_sub_f16_e32 v28, v10, v11
	v_sub_f16_e32 v26, v27, v10
	v_add_f16_e32 v10, v10, v11
	v_mul_f16_e32 v3, 0x3a52, v35
	v_sub_f16_e32 v5, v5, v7
	v_add_f16_e32 v25, v45, v32
	v_sub_f16_e32 v24, v2, v1
	v_sub_f16_e32 v11, v11, v27
	v_mul_f16_e32 v9, 0x3a52, v34
	v_sub_f16_e32 v36, v0, v2
	v_add_f16_e32 v2, v2, v1
	v_sub_f16_e32 v29, v29, v30
	v_sub_f16_e32 v1, v1, v0
	v_mul_f16_e32 v28, 0x3846, v28
	v_add_f16_e32 v6, v46, v33
	v_mul_f16_e32 v34, 0x2b26, v8
	v_fmamk_f16 v35, v5, 0x2b26, v3
	v_fmamk_f16 v32, v32, 0xbcab, v25
	v_mul_f16_e32 v24, 0x3846, v24
	v_mul_f16_e32 v38, 0xbb00, v11
	v_fmamk_f16 v8, v8, 0x2b26, v9
	v_mul_f16_e32 v5, 0x2b26, v5
	v_sub_f16_e32 v4, v7, v4
	v_fma_f16 v7, v29, 0xb9e0, -v9
	v_mul_f16_e32 v9, 0xbb00, v1
	v_fmamk_f16 v31, v26, 0xb574, v28
	v_add_f16_e32 v10, v10, v27
	v_fmamk_f16 v33, v33, 0xbcab, v6
	v_add_f16_e32 v27, v35, v32
	;; [unrolled: 2-line block ×3, first 2 shown]
	v_fma_f16 v2, v26, 0x3574, -v38
	v_fma_f16 v26, v29, 0x39e0, -v34
	;; [unrolled: 1-line block ×7, first 2 shown]
	v_fmac_f16_e32 v31, 0xb70e, v10
	v_add_f16_e32 v8, v8, v33
	v_fmac_f16_e32 v35, 0xb70e, v0
	v_fmac_f16_e32 v2, 0xb70e, v10
	v_add_f16_e32 v7, v7, v33
	v_add_f16_e32 v5, v26, v33
	v_fmac_f16_e32 v11, 0xb70e, v10
	v_add_f16_e32 v3, v3, v32
	v_fmac_f16_e32 v9, 0xb70e, v0
	v_fmac_f16_e32 v1, 0xb70e, v0
	v_add_f16_e32 v0, v4, v32
	v_add_f16_e32 v37, v31, v8
	;; [unrolled: 1-line block ×3, first 2 shown]
	v_sub_f16_e32 v26, v5, v11
	v_add_f16_e32 v5, v11, v5
	v_sub_f16_e32 v2, v7, v2
	v_sub_f16_e32 v7, v8, v31
	v_add_f16_e32 v8, v35, v27
	v_lshlrev_b32_e32 v11, 2, v93
	v_sub_f16_e32 v24, v3, v9
	v_add_f16_e32 v28, v1, v0
	v_add_f16_e32 v3, v9, v3
	v_sub_f16_e32 v0, v0, v1
	v_sub_f16_e32 v4, v27, v35
	v_pack_b32_f16 v1, v25, v6
	v_pack_b32_f16 v6, v8, v7
	v_add_nc_u32_e32 v7, 0x1400, v11
	v_pack_b32_f16 v2, v3, v2
	v_pack_b32_f16 v0, v0, v5
	v_add_nc_u32_e32 v3, 0x1800, v11
	v_pack_b32_f16 v5, v28, v26
	v_pack_b32_f16 v8, v24, v10
	;; [unrolled: 1-line block ×3, first 2 shown]
	ds_store_2addr_b32 v7, v1, v6 offset0:148 offset1:216
	ds_store_2addr_b32 v3, v2, v0 offset0:28 offset1:96
	;; [unrolled: 1-line block ×3, first 2 shown]
	ds_store_b32 v11, v4 offset:7344
.LBB0_21:
	s_wait_alu 0xfffe
	s_or_b32 exec_lo, exec_lo, s1
	v_add_nc_u32_e32 v24, 0x600, v52
	v_add_nc_u32_e32 v29, 0xe00, v52
	;; [unrolled: 1-line block ×3, first 2 shown]
	global_wb scope:SCOPE_SE
	s_wait_dscnt 0x0
	s_barrier_signal -1
	s_barrier_wait -1
	global_inv scope:SCOPE_SE
	ds_load_2addr_b32 v[0:1], v52 offset1:119
	ds_load_2addr_b32 v[2:3], v24 offset0:92 offset1:211
	ds_load_2addr_b32 v[4:5], v29 offset0:56 offset1:175
	;; [unrolled: 1-line block ×3, first 2 shown]
	v_add_nc_u32_e32 v31, 0x200, v52
	v_add_nc_u32_e32 v32, 0xa00, v52
	;; [unrolled: 1-line block ×4, first 2 shown]
	ds_load_2addr_b32 v[8:9], v31 offset0:110 offset1:229
	ds_load_2addr_b32 v[10:11], v32 offset0:74 offset1:193
	ds_load_2addr_b32 v[25:26], v33 offset0:38 offset1:157
	ds_load_2addr_b32 v[27:28], v34 offset0:130 offset1:249
	s_wait_dscnt 0x7
	v_lshrrev_b32_e32 v35, 16, v0
	s_wait_dscnt 0x6
	v_lshrrev_b32_e32 v37, 16, v2
	;; [unrolled: 2-line block ×4, first 2 shown]
	v_lshrrev_b32_e32 v40, 16, v3
	v_mul_f16_e32 v51, v121, v2
	v_mul_f16_e32 v49, v121, v37
	v_lshrrev_b32_e32 v41, 16, v5
	v_lshrrev_b32_e32 v42, 16, v7
	v_mul_f16_e32 v56, v119, v6
	v_mul_f16_e32 v57, v118, v40
	v_fmac_f16_e32 v49, v18, v2
	v_fma_f16 v2, v18, v37, -v51
	v_mul_f16_e32 v18, v120, v38
	v_mul_f16_e32 v37, v120, v4
	;; [unrolled: 1-line block ×3, first 2 shown]
	s_wait_dscnt 0x2
	v_lshrrev_b32_e32 v44, 16, v10
	s_wait_dscnt 0x1
	v_lshrrev_b32_e32 v45, 16, v25
	;; [unrolled: 2-line block ×3, first 2 shown]
	v_fmac_f16_e32 v18, v19, v4
	v_fma_f16 v4, v19, v38, -v37
	v_fmac_f16_e32 v51, v20, v6
	v_fma_f16 v6, v20, v39, -v56
	v_fmac_f16_e32 v57, v21, v3
	v_mul_f16_e32 v3, v118, v3
	v_mul_f16_e32 v19, v117, v41
	v_mul_f16_e32 v20, v117, v5
	v_mul_f16_e32 v37, v116, v42
	v_mul_f16_e32 v38, v116, v7
	v_lshrrev_b32_e32 v53, 16, v11
	v_lshrrev_b32_e32 v54, 16, v26
	v_fma_f16 v3, v21, v40, -v3
	v_fmac_f16_e32 v19, v22, v5
	v_fma_f16 v5, v22, v41, -v20
	v_fmac_f16_e32 v37, v23, v7
	v_fma_f16 v7, v23, v42, -v38
	v_mul_f16_e32 v20, v115, v44
	v_mul_f16_e32 v21, v115, v10
	;; [unrolled: 1-line block ×5, first 2 shown]
	v_lshrrev_b32_e32 v55, 16, v28
	v_fmac_f16_e32 v20, v15, v10
	v_fma_f16 v10, v15, v44, -v21
	v_fmac_f16_e32 v22, v16, v25
	v_fma_f16 v15, v16, v45, -v23
	v_fmac_f16_e32 v38, v17, v27
	v_mul_f16_e32 v16, v113, v27
	v_mul_f16_e32 v21, v112, v53
	;; [unrolled: 1-line block ×5, first 2 shown]
	v_lshrrev_b32_e32 v36, 16, v1
	v_fmac_f16_e32 v21, v12, v11
	v_fma_f16 v11, v12, v53, -v23
	v_fmac_f16_e32 v25, v13, v26
	v_fma_f16 v12, v13, v54, -v27
	v_sub_f16_e32 v13, v0, v18
	v_mul_f16_e32 v18, v110, v55
	v_mul_f16_e32 v26, v110, v28
	v_fma_f16 v16, v17, v46, -v16
	v_sub_f16_e32 v17, v49, v51
	v_sub_f16_e32 v4, v35, v4
	;; [unrolled: 1-line block ×3, first 2 shown]
	v_fmac_f16_e32 v18, v14, v28
	v_fma_f16 v14, v14, v55, -v26
	v_sub_f16_e32 v19, v1, v19
	v_sub_f16_e32 v26, v57, v37
	;; [unrolled: 1-line block ×4, first 2 shown]
	v_lshrrev_b32_e32 v43, 16, v8
	v_lshrrev_b32_e32 v47, 16, v9
	v_fma_f16 v0, v0, 2.0, -v13
	v_fma_f16 v23, v49, 2.0, -v17
	;; [unrolled: 1-line block ×8, first 2 shown]
	v_sub_f16_e32 v22, v8, v22
	v_sub_f16_e32 v15, v43, v15
	;; [unrolled: 1-line block ×12, first 2 shown]
	v_add_f16_e32 v6, v13, v6
	v_sub_f16_e32 v17, v4, v17
	v_add_f16_e32 v7, v19, v7
	v_sub_f16_e32 v26, v5, v26
	v_fma_f16 v8, v8, 2.0, -v22
	v_fma_f16 v37, v43, 2.0, -v15
	v_fma_f16 v20, v20, 2.0, -v36
	v_fma_f16 v10, v10, 2.0, -v16
	v_fma_f16 v9, v9, 2.0, -v25
	v_fma_f16 v38, v47, 2.0, -v12
	v_fma_f16 v21, v21, 2.0, -v18
	v_fma_f16 v11, v11, 2.0, -v14
	v_fma_f16 v0, v0, 2.0, -v23
	v_fma_f16 v27, v27, 2.0, -v2
	v_fma_f16 v1, v1, 2.0, -v28
	v_fma_f16 v35, v35, 2.0, -v3
	v_fma_f16 v13, v13, 2.0, -v6
	v_fma_f16 v4, v4, 2.0, -v17
	v_fma_f16 v19, v19, 2.0, -v7
	v_fma_f16 v5, v5, 2.0, -v26
	v_sub_f16_e32 v20, v8, v20
	v_sub_f16_e32 v10, v37, v10
	;; [unrolled: 1-line block ×4, first 2 shown]
	v_add_f16_e32 v16, v22, v16
	v_sub_f16_e32 v36, v15, v36
	v_add_f16_e32 v14, v25, v14
	v_sub_f16_e32 v18, v12, v18
	v_pack_b32_f16 v0, v0, v27
	v_pack_b32_f16 v1, v1, v35
	v_fma_f16 v8, v8, 2.0, -v20
	v_fma_f16 v37, v37, 2.0, -v10
	;; [unrolled: 1-line block ×4, first 2 shown]
	v_pack_b32_f16 v4, v13, v4
	v_pack_b32_f16 v5, v19, v5
	v_fma_f16 v22, v22, 2.0, -v16
	v_fma_f16 v15, v15, 2.0, -v36
	;; [unrolled: 1-line block ×3, first 2 shown]
	v_pack_b32_f16 v2, v23, v2
	v_pack_b32_f16 v3, v28, v3
	v_fma_f16 v12, v12, 2.0, -v18
	v_pack_b32_f16 v6, v6, v17
	ds_store_2addr_b32 v52, v0, v1 offset1:119
	ds_store_2addr_b32 v24, v4, v5 offset0:92 offset1:211
	ds_store_2addr_b32 v29, v2, v3 offset0:56 offset1:175
	v_pack_b32_f16 v0, v7, v26
	v_pack_b32_f16 v1, v8, v37
	;; [unrolled: 1-line block ×9, first 2 shown]
	ds_store_2addr_b32 v30, v6, v0 offset0:20 offset1:139
	ds_store_2addr_b32 v31, v1, v5 offset0:110 offset1:229
	;; [unrolled: 1-line block ×5, first 2 shown]
	global_wb scope:SCOPE_SE
	s_wait_dscnt 0x0
	s_barrier_signal -1
	s_barrier_wait -1
	global_inv scope:SCOPE_SE
	s_and_b32 exec_lo, exec_lo, vcc_lo
	s_cbranch_execz .LBB0_23
; %bb.22:
	global_load_b32 v0, v48, s[12:13]
	ds_load_b32 v1, v52
	s_mov_b32 s8, 0x1135c811
	s_mov_b32 s9, 0x3f4135c8
	v_mad_co_u64_u32 v[6:7], null, s4, v50, 0
	scratch_load_b32 v19, off, off offset:8 th:TH_LOAD_LU ; 4-byte Folded Reload
	s_wait_dscnt 0x0
	v_lshrrev_b32_e32 v2, 16, v1
	s_wait_loadcnt 0x1
	v_lshrrev_b32_e32 v3, 16, v0
	s_delay_alu instid0(VALU_DEP_1) | instskip(SKIP_1) | instid1(VALU_DEP_2)
	v_mul_f16_e32 v4, v2, v3
	v_mul_f16_e32 v3, v1, v3
	v_fmac_f16_e32 v4, v1, v0
	s_delay_alu instid0(VALU_DEP_2) | instskip(NEXT) | instid1(VALU_DEP_2)
	v_fma_f16 v0, v0, v2, -v3
	v_cvt_f32_f16_e32 v1, v4
	s_delay_alu instid0(VALU_DEP_2) | instskip(SKIP_1) | instid1(VALU_DEP_3)
	v_cvt_f32_f16_e32 v2, v0
	v_mad_co_u64_u32 v[4:5], null, s6, v249, 0
	v_cvt_f64_f32_e32 v[0:1], v1
	s_delay_alu instid0(VALU_DEP_3) | instskip(SKIP_1) | instid1(VALU_DEP_2)
	v_cvt_f64_f32_e32 v[2:3], v2
	s_wait_alu 0xfffe
	v_mul_f64_e32 v[0:1], s[8:9], v[0:1]
	s_delay_alu instid0(VALU_DEP_2) | instskip(NEXT) | instid1(VALU_DEP_2)
	v_mul_f64_e32 v[2:3], s[8:9], v[2:3]
	v_and_or_b32 v0, 0x1ff, v1, v0
	s_delay_alu instid0(VALU_DEP_2)
	v_and_or_b32 v2, 0x1ff, v3, v2
	v_lshrrev_b32_e32 v8, 8, v1
	v_bfe_u32 v10, v1, 20, 11
	v_lshrrev_b32_e32 v9, 8, v3
	v_cmp_ne_u32_e32 vcc_lo, 0, v0
	v_bfe_u32 v11, v3, 20, 11
	v_mov_b32_e32 v0, v7
	v_sub_nc_u32_e32 v13, 0x3f1, v10
	v_add_nc_u32_e32 v10, 0xfffffc10, v10
	v_cndmask_b32_e64 v12, 0, 1, vcc_lo
	v_cmp_ne_u32_e32 vcc_lo, 0, v2
	v_sub_nc_u32_e32 v14, 0x3f1, v11
	v_med3_i32 v13, v13, 0, 13
	v_lshrrev_b32_e32 v3, 16, v3
	v_and_or_b32 v12, 0xffe, v8, v12
	s_wait_alu 0xfffd
	v_cndmask_b32_e64 v2, 0, 1, vcc_lo
	v_mad_co_u64_u32 v[7:8], null, s7, v249, v[5:6]
	v_med3_i32 v14, v14, 0, 13
	v_or_b32_e32 v15, 0x1000, v12
	s_delay_alu instid0(VALU_DEP_4) | instskip(SKIP_1) | instid1(VALU_DEP_4)
	v_and_or_b32 v2, 0xffe, v9, v2
	s_mul_u64 s[6:7], s[4:5], 0x1c0
	v_mov_b32_e32 v5, v7
	s_delay_alu instid0(VALU_DEP_2) | instskip(SKIP_3) | instid1(VALU_DEP_4)
	v_or_b32_e32 v16, 0x1000, v2
	v_mad_co_u64_u32 v[8:9], null, s5, v50, v[0:1]
	v_lshrrev_b32_e32 v0, v13, v15
	v_lshrrev_b32_e32 v1, 16, v1
	;; [unrolled: 1-line block ×3, first 2 shown]
	v_lshlrev_b64_e32 v[4:5], 2, v[4:5]
	s_delay_alu instid0(VALU_DEP_4) | instskip(NEXT) | instid1(VALU_DEP_3)
	v_lshlrev_b32_e32 v13, v13, v0
	v_dual_mov_b32 v7, v8 :: v_dual_lshlrev_b32 v8, v14, v9
	v_lshl_or_b32 v14, v10, 12, v12
	s_delay_alu instid0(VALU_DEP_3) | instskip(NEXT) | instid1(VALU_DEP_3)
	v_cmp_ne_u32_e32 vcc_lo, v13, v15
	v_lshlrev_b64_e32 v[6:7], 2, v[6:7]
	s_wait_alu 0xfffd
	v_cndmask_b32_e64 v13, 0, 1, vcc_lo
	v_cmp_ne_u32_e32 vcc_lo, v8, v16
	s_delay_alu instid0(VALU_DEP_2) | instskip(SKIP_4) | instid1(VALU_DEP_3)
	v_or_b32_e32 v0, v0, v13
	s_wait_alu 0xfffd
	v_cndmask_b32_e64 v8, 0, 1, vcc_lo
	v_cmp_gt_i32_e32 vcc_lo, 1, v10
	v_add_nc_u32_e32 v11, 0xfffffc10, v11
	v_or_b32_e32 v8, v9, v8
	s_wait_alu 0xfffd
	v_cndmask_b32_e32 v0, v14, v0, vcc_lo
	s_delay_alu instid0(VALU_DEP_3) | instskip(SKIP_2) | instid1(VALU_DEP_2)
	v_lshl_or_b32 v13, v11, 12, v2
	v_cmp_gt_i32_e32 vcc_lo, 1, v11
	s_wait_alu 0xfffd
	v_cndmask_b32_e32 v8, v13, v8, vcc_lo
	v_cmp_ne_u32_e32 vcc_lo, 0, v12
	v_and_b32_e32 v12, 7, v0
	v_lshrrev_b32_e32 v0, 2, v0
	s_wait_alu 0xfffd
	v_cndmask_b32_e64 v9, 0, 1, vcc_lo
	v_cmp_ne_u32_e32 vcc_lo, 0, v2
	v_cmp_eq_u32_e64 s0, 3, v12
	s_delay_alu instid0(VALU_DEP_3) | instskip(SKIP_3) | instid1(VALU_DEP_2)
	v_lshl_or_b32 v9, v9, 9, 0x7c00
	s_wait_alu 0xfffd
	v_cndmask_b32_e64 v2, 0, 1, vcc_lo
	v_cmp_lt_i32_e32 vcc_lo, 5, v12
	v_lshl_or_b32 v2, v2, 9, 0x7c00
	v_and_b32_e32 v13, 7, v8
	v_lshrrev_b32_e32 v8, 2, v8
	s_or_b32 vcc_lo, s0, vcc_lo
	s_wait_alu 0xfffe
	v_add_co_ci_u32_e32 v0, vcc_lo, 0, v0, vcc_lo
	v_cmp_lt_i32_e64 s1, 5, v13
	v_cmp_eq_u32_e64 s2, 3, v13
	s_delay_alu instid0(VALU_DEP_1)
	s_or_b32 vcc_lo, s2, s1
	s_wait_alu 0xfffe
	v_add_co_ci_u32_e32 v8, vcc_lo, 0, v8, vcc_lo
	v_cmp_gt_i32_e32 vcc_lo, 31, v10
	s_wait_alu 0xfffd
	v_cndmask_b32_e32 v0, 0x7c00, v0, vcc_lo
	v_cmp_gt_i32_e32 vcc_lo, 31, v11
	s_wait_alu 0xfffd
	v_cndmask_b32_e32 v8, 0x7c00, v8, vcc_lo
	v_cmp_eq_u32_e32 vcc_lo, 0x40f, v10
	s_wait_alu 0xfffd
	v_cndmask_b32_e32 v0, v0, v9, vcc_lo
	v_cmp_eq_u32_e32 vcc_lo, 0x40f, v11
	s_wait_alu 0xfffd
	v_cndmask_b32_e32 v2, v8, v2, vcc_lo
	s_delay_alu instid0(VALU_DEP_3)
	v_and_or_b32 v8, 0x8000, v1, v0
	v_add_co_u32 v0, vcc_lo, s14, v4
	s_wait_alu 0xfffd
	v_add_co_ci_u32_e32 v1, vcc_lo, s15, v5, vcc_lo
	v_and_or_b32 v4, 0x8000, v3, v2
	v_and_b32_e32 v5, 0xffff, v8
	v_add_co_u32 v2, vcc_lo, v0, v6
	s_wait_alu 0xfffd
	v_add_co_ci_u32_e32 v3, vcc_lo, v1, v7, vcc_lo
	s_delay_alu instid0(VALU_DEP_3)
	v_lshl_or_b32 v4, v4, 16, v5
	global_store_b32 v[2:3], v4, off
	global_load_b32 v6, v48, s[12:13] offset:448
	ds_load_2addr_b32 v[4:5], v48 offset0:112 offset1:224
	s_wait_dscnt 0x0
	v_lshrrev_b32_e32 v7, 16, v4
	s_wait_loadcnt 0x0
	v_lshrrev_b32_e32 v8, 16, v6
	s_delay_alu instid0(VALU_DEP_1) | instskip(SKIP_1) | instid1(VALU_DEP_2)
	v_mul_f16_e32 v9, v7, v8
	v_mul_f16_e32 v8, v4, v8
	v_fmac_f16_e32 v9, v4, v6
	s_delay_alu instid0(VALU_DEP_2) | instskip(NEXT) | instid1(VALU_DEP_2)
	v_fma_f16 v4, v6, v7, -v8
	v_cvt_f32_f16_e32 v6, v9
	s_delay_alu instid0(VALU_DEP_2) | instskip(NEXT) | instid1(VALU_DEP_2)
	v_cvt_f32_f16_e32 v4, v4
	v_cvt_f64_f32_e32 v[6:7], v6
	s_delay_alu instid0(VALU_DEP_2) | instskip(NEXT) | instid1(VALU_DEP_2)
	v_cvt_f64_f32_e32 v[8:9], v4
	v_mul_f64_e32 v[6:7], s[8:9], v[6:7]
	s_delay_alu instid0(VALU_DEP_2) | instskip(NEXT) | instid1(VALU_DEP_2)
	v_mul_f64_e32 v[8:9], s[8:9], v[8:9]
	v_and_or_b32 v4, 0x1ff, v7, v6
	s_delay_alu instid0(VALU_DEP_2)
	v_and_or_b32 v8, 0x1ff, v9, v8
	v_lshrrev_b32_e32 v6, 8, v7
	v_bfe_u32 v10, v7, 20, 11
	v_lshrrev_b32_e32 v11, 8, v9
	v_cmp_ne_u32_e32 vcc_lo, 0, v4
	v_bfe_u32 v12, v9, 20, 11
	v_lshrrev_b32_e32 v7, 16, v7
	v_sub_nc_u32_e32 v13, 0x3f1, v10
	v_add_nc_u32_e32 v10, 0xfffffc10, v10
	s_wait_alu 0xfffd
	v_cndmask_b32_e64 v4, 0, 1, vcc_lo
	v_cmp_ne_u32_e32 vcc_lo, 0, v8
	v_lshrrev_b32_e32 v9, 16, v9
	s_delay_alu instid0(VALU_DEP_3) | instskip(SKIP_4) | instid1(VALU_DEP_3)
	v_and_or_b32 v4, 0xffe, v6, v4
	s_wait_alu 0xfffd
	v_cndmask_b32_e64 v8, 0, 1, vcc_lo
	v_sub_nc_u32_e32 v6, 0x3f1, v12
	v_add_nc_u32_e32 v12, 0xfffffc10, v12
	v_and_or_b32 v8, 0xffe, v11, v8
	v_med3_i32 v11, v13, 0, 13
	v_or_b32_e32 v13, 0x1000, v4
	v_med3_i32 v6, v6, 0, 13
	s_delay_alu instid0(VALU_DEP_4) | instskip(NEXT) | instid1(VALU_DEP_3)
	v_or_b32_e32 v14, 0x1000, v8
	v_lshrrev_b32_e32 v15, v11, v13
	s_delay_alu instid0(VALU_DEP_2) | instskip(NEXT) | instid1(VALU_DEP_2)
	v_lshrrev_b32_e32 v16, v6, v14
	v_lshlrev_b32_e32 v11, v11, v15
	s_delay_alu instid0(VALU_DEP_2) | instskip(NEXT) | instid1(VALU_DEP_2)
	v_lshlrev_b32_e32 v6, v6, v16
	v_cmp_ne_u32_e32 vcc_lo, v11, v13
	v_lshl_or_b32 v13, v10, 12, v4
	s_wait_alu 0xfffd
	v_cndmask_b32_e64 v11, 0, 1, vcc_lo
	v_cmp_ne_u32_e32 vcc_lo, v6, v14
	v_lshl_or_b32 v14, v12, 12, v8
	s_delay_alu instid0(VALU_DEP_3) | instskip(SKIP_3) | instid1(VALU_DEP_2)
	v_or_b32_e32 v11, v15, v11
	s_wait_alu 0xfffd
	v_cndmask_b32_e64 v6, 0, 1, vcc_lo
	v_cmp_gt_i32_e32 vcc_lo, 1, v10
	v_or_b32_e32 v6, v16, v6
	s_wait_alu 0xfffd
	v_cndmask_b32_e32 v11, v13, v11, vcc_lo
	v_cmp_gt_i32_e32 vcc_lo, 1, v12
	s_wait_alu 0xfffd
	s_delay_alu instid0(VALU_DEP_2) | instskip(SKIP_2) | instid1(VALU_DEP_3)
	v_dual_cndmask_b32 v6, v14, v6 :: v_dual_and_b32 v13, 7, v11
	v_cmp_ne_u32_e32 vcc_lo, 0, v4
	v_lshrrev_b32_e32 v11, 2, v11
	v_cmp_eq_u32_e64 s0, 3, v13
	s_delay_alu instid0(VALU_DEP_4)
	v_and_b32_e32 v14, 7, v6
	s_wait_alu 0xfffd
	v_cndmask_b32_e64 v4, 0, 1, vcc_lo
	v_cmp_ne_u32_e32 vcc_lo, 0, v8
	v_lshrrev_b32_e32 v6, 2, v6
	v_cmp_lt_i32_e64 s1, 5, v14
	v_cmp_eq_u32_e64 s2, 3, v14
	s_wait_alu 0xfffd
	v_cndmask_b32_e64 v8, 0, 1, vcc_lo
	v_cmp_lt_i32_e32 vcc_lo, 5, v13
	v_lshl_or_b32 v4, v4, 9, 0x7c00
	s_delay_alu instid0(VALU_DEP_3)
	v_lshl_or_b32 v8, v8, 9, 0x7c00
	s_or_b32 vcc_lo, s0, vcc_lo
	s_wait_alu 0xfffe
	v_add_co_ci_u32_e32 v11, vcc_lo, 0, v11, vcc_lo
	s_or_b32 vcc_lo, s2, s1
	s_wait_alu 0xfffe
	v_add_co_ci_u32_e32 v6, vcc_lo, 0, v6, vcc_lo
	v_cmp_gt_i32_e32 vcc_lo, 31, v10
	s_wait_alu 0xfffd
	v_cndmask_b32_e32 v11, 0x7c00, v11, vcc_lo
	v_cmp_gt_i32_e32 vcc_lo, 31, v12
	s_wait_alu 0xfffd
	v_cndmask_b32_e32 v6, 0x7c00, v6, vcc_lo
	v_cmp_eq_u32_e32 vcc_lo, 0x40f, v10
	s_wait_alu 0xfffd
	v_cndmask_b32_e32 v4, v11, v4, vcc_lo
	v_cmp_eq_u32_e32 vcc_lo, 0x40f, v12
	s_delay_alu instid0(VALU_DEP_2)
	v_and_or_b32 v4, 0x8000, v7, v4
	s_wait_alu 0xfffd
	v_cndmask_b32_e32 v6, v6, v8, vcc_lo
	v_add_co_u32 v2, vcc_lo, v2, s6
	s_wait_alu 0xfffd
	v_add_co_ci_u32_e32 v3, vcc_lo, s7, v3, vcc_lo
	s_delay_alu instid0(VALU_DEP_3) | instskip(SKIP_1) | instid1(VALU_DEP_1)
	v_and_or_b32 v6, 0x8000, v9, v6
	v_and_b32_e32 v4, 0xffff, v4
	v_lshl_or_b32 v4, v6, 16, v4
	v_lshrrev_b32_e32 v6, 16, v5
	global_store_b32 v[2:3], v4, off
	global_load_b32 v4, v48, s[12:13] offset:896
	s_wait_loadcnt 0x0
	v_lshrrev_b32_e32 v7, 16, v4
	s_delay_alu instid0(VALU_DEP_1) | instskip(SKIP_1) | instid1(VALU_DEP_2)
	v_mul_f16_e32 v8, v6, v7
	v_mul_f16_e32 v7, v5, v7
	v_fmac_f16_e32 v8, v5, v4
	s_delay_alu instid0(VALU_DEP_2) | instskip(NEXT) | instid1(VALU_DEP_2)
	v_fma_f16 v4, v4, v6, -v7
	v_cvt_f32_f16_e32 v5, v8
	s_delay_alu instid0(VALU_DEP_2) | instskip(NEXT) | instid1(VALU_DEP_2)
	v_cvt_f32_f16_e32 v6, v4
	v_cvt_f64_f32_e32 v[4:5], v5
	s_delay_alu instid0(VALU_DEP_2) | instskip(NEXT) | instid1(VALU_DEP_2)
	v_cvt_f64_f32_e32 v[6:7], v6
	v_mul_f64_e32 v[4:5], s[8:9], v[4:5]
	s_delay_alu instid0(VALU_DEP_2) | instskip(NEXT) | instid1(VALU_DEP_2)
	v_mul_f64_e32 v[6:7], s[8:9], v[6:7]
	v_and_or_b32 v4, 0x1ff, v5, v4
	s_delay_alu instid0(VALU_DEP_2)
	v_and_or_b32 v6, 0x1ff, v7, v6
	v_lshrrev_b32_e32 v8, 8, v5
	v_bfe_u32 v9, v5, 20, 11
	v_lshrrev_b32_e32 v10, 8, v7
	v_cmp_ne_u32_e32 vcc_lo, 0, v4
	v_bfe_u32 v11, v7, 20, 11
	v_lshrrev_b32_e32 v5, 16, v5
	v_sub_nc_u32_e32 v12, 0x3f1, v9
	v_add_nc_u32_e32 v9, 0xfffffc10, v9
	s_wait_alu 0xfffd
	v_cndmask_b32_e64 v4, 0, 1, vcc_lo
	v_cmp_ne_u32_e32 vcc_lo, 0, v6
	v_lshrrev_b32_e32 v7, 16, v7
	s_delay_alu instid0(VALU_DEP_3) | instskip(SKIP_4) | instid1(VALU_DEP_3)
	v_and_or_b32 v4, 0xffe, v8, v4
	s_wait_alu 0xfffd
	v_cndmask_b32_e64 v6, 0, 1, vcc_lo
	v_sub_nc_u32_e32 v8, 0x3f1, v11
	v_add_nc_u32_e32 v11, 0xfffffc10, v11
	v_and_or_b32 v6, 0xffe, v10, v6
	v_med3_i32 v10, v12, 0, 13
	v_or_b32_e32 v12, 0x1000, v4
	v_med3_i32 v8, v8, 0, 13
	s_delay_alu instid0(VALU_DEP_4) | instskip(NEXT) | instid1(VALU_DEP_3)
	v_or_b32_e32 v13, 0x1000, v6
	v_lshrrev_b32_e32 v14, v10, v12
	s_delay_alu instid0(VALU_DEP_2) | instskip(NEXT) | instid1(VALU_DEP_2)
	v_lshrrev_b32_e32 v15, v8, v13
	v_lshlrev_b32_e32 v10, v10, v14
	s_delay_alu instid0(VALU_DEP_2) | instskip(NEXT) | instid1(VALU_DEP_2)
	v_lshlrev_b32_e32 v8, v8, v15
	v_cmp_ne_u32_e32 vcc_lo, v10, v12
	v_lshl_or_b32 v12, v9, 12, v4
	s_wait_alu 0xfffd
	v_cndmask_b32_e64 v10, 0, 1, vcc_lo
	v_cmp_ne_u32_e32 vcc_lo, v8, v13
	v_lshl_or_b32 v13, v11, 12, v6
	s_delay_alu instid0(VALU_DEP_3) | instskip(SKIP_3) | instid1(VALU_DEP_2)
	v_or_b32_e32 v10, v14, v10
	s_wait_alu 0xfffd
	v_cndmask_b32_e64 v8, 0, 1, vcc_lo
	v_cmp_gt_i32_e32 vcc_lo, 1, v9
	v_or_b32_e32 v8, v15, v8
	s_wait_alu 0xfffd
	v_cndmask_b32_e32 v10, v12, v10, vcc_lo
	v_cmp_gt_i32_e32 vcc_lo, 1, v11
	s_delay_alu instid0(VALU_DEP_2)
	v_and_b32_e32 v12, 7, v10
	s_wait_alu 0xfffd
	v_cndmask_b32_e32 v8, v13, v8, vcc_lo
	v_cmp_ne_u32_e32 vcc_lo, 0, v4
	v_lshrrev_b32_e32 v10, 2, v10
	v_cmp_eq_u32_e64 s0, 3, v12
	s_delay_alu instid0(VALU_DEP_4)
	v_and_b32_e32 v13, 7, v8
	s_wait_alu 0xfffd
	v_cndmask_b32_e64 v4, 0, 1, vcc_lo
	v_cmp_ne_u32_e32 vcc_lo, 0, v6
	v_lshrrev_b32_e32 v8, 2, v8
	v_cmp_lt_i32_e64 s1, 5, v13
	v_cmp_eq_u32_e64 s2, 3, v13
	s_wait_alu 0xfffd
	v_cndmask_b32_e64 v6, 0, 1, vcc_lo
	v_cmp_lt_i32_e32 vcc_lo, 5, v12
	v_lshl_or_b32 v4, v4, 9, 0x7c00
	s_delay_alu instid0(VALU_DEP_3)
	v_lshl_or_b32 v6, v6, 9, 0x7c00
	s_or_b32 vcc_lo, s0, vcc_lo
	s_wait_alu 0xfffe
	v_add_co_ci_u32_e32 v10, vcc_lo, 0, v10, vcc_lo
	s_or_b32 vcc_lo, s2, s1
	s_wait_alu 0xfffe
	v_add_co_ci_u32_e32 v8, vcc_lo, 0, v8, vcc_lo
	v_cmp_gt_i32_e32 vcc_lo, 31, v9
	s_wait_alu 0xfffd
	v_cndmask_b32_e32 v10, 0x7c00, v10, vcc_lo
	v_cmp_gt_i32_e32 vcc_lo, 31, v11
	s_wait_alu 0xfffd
	v_cndmask_b32_e32 v8, 0x7c00, v8, vcc_lo
	v_cmp_eq_u32_e32 vcc_lo, 0x40f, v9
	s_wait_alu 0xfffd
	v_cndmask_b32_e32 v4, v10, v4, vcc_lo
	v_cmp_eq_u32_e32 vcc_lo, 0x40f, v11
	s_delay_alu instid0(VALU_DEP_2)
	v_and_or_b32 v4, 0x8000, v5, v4
	s_wait_alu 0xfffd
	v_cndmask_b32_e32 v6, v8, v6, vcc_lo
	v_add_co_u32 v2, vcc_lo, v2, s6
	s_wait_alu 0xfffd
	v_add_co_ci_u32_e32 v3, vcc_lo, s7, v3, vcc_lo
	s_delay_alu instid0(VALU_DEP_3) | instskip(SKIP_1) | instid1(VALU_DEP_1)
	v_and_or_b32 v5, 0x8000, v7, v6
	v_and_b32_e32 v4, 0xffff, v4
	v_lshl_or_b32 v4, v5, 16, v4
	global_store_b32 v[2:3], v4, off
	global_load_b32 v6, v48, s[12:13] offset:1344
	v_add_nc_u32_e32 v4, 0x400, v48
	ds_load_2addr_b32 v[4:5], v4 offset0:80 offset1:192
	s_wait_dscnt 0x0
	v_lshrrev_b32_e32 v7, 16, v4
	s_wait_loadcnt 0x0
	v_lshrrev_b32_e32 v8, 16, v6
	s_delay_alu instid0(VALU_DEP_1) | instskip(SKIP_1) | instid1(VALU_DEP_2)
	v_mul_f16_e32 v9, v7, v8
	v_mul_f16_e32 v8, v4, v8
	v_fmac_f16_e32 v9, v4, v6
	s_delay_alu instid0(VALU_DEP_2) | instskip(NEXT) | instid1(VALU_DEP_2)
	v_fma_f16 v4, v6, v7, -v8
	v_cvt_f32_f16_e32 v6, v9
	s_delay_alu instid0(VALU_DEP_2) | instskip(NEXT) | instid1(VALU_DEP_2)
	v_cvt_f32_f16_e32 v4, v4
	v_cvt_f64_f32_e32 v[6:7], v6
	s_delay_alu instid0(VALU_DEP_2) | instskip(NEXT) | instid1(VALU_DEP_2)
	v_cvt_f64_f32_e32 v[8:9], v4
	v_mul_f64_e32 v[6:7], s[8:9], v[6:7]
	s_delay_alu instid0(VALU_DEP_2) | instskip(NEXT) | instid1(VALU_DEP_2)
	v_mul_f64_e32 v[8:9], s[8:9], v[8:9]
	v_and_or_b32 v4, 0x1ff, v7, v6
	s_delay_alu instid0(VALU_DEP_2)
	v_and_or_b32 v8, 0x1ff, v9, v8
	v_lshrrev_b32_e32 v6, 8, v7
	v_bfe_u32 v10, v7, 20, 11
	v_lshrrev_b32_e32 v11, 8, v9
	v_cmp_ne_u32_e32 vcc_lo, 0, v4
	v_bfe_u32 v12, v9, 20, 11
	v_lshrrev_b32_e32 v7, 16, v7
	v_sub_nc_u32_e32 v13, 0x3f1, v10
	v_add_nc_u32_e32 v10, 0xfffffc10, v10
	s_wait_alu 0xfffd
	v_cndmask_b32_e64 v4, 0, 1, vcc_lo
	v_cmp_ne_u32_e32 vcc_lo, 0, v8
	v_lshrrev_b32_e32 v9, 16, v9
	s_delay_alu instid0(VALU_DEP_3) | instskip(SKIP_4) | instid1(VALU_DEP_3)
	v_and_or_b32 v4, 0xffe, v6, v4
	s_wait_alu 0xfffd
	v_cndmask_b32_e64 v8, 0, 1, vcc_lo
	v_sub_nc_u32_e32 v6, 0x3f1, v12
	v_add_nc_u32_e32 v12, 0xfffffc10, v12
	v_and_or_b32 v8, 0xffe, v11, v8
	v_med3_i32 v11, v13, 0, 13
	v_or_b32_e32 v13, 0x1000, v4
	v_med3_i32 v6, v6, 0, 13
	s_delay_alu instid0(VALU_DEP_4) | instskip(NEXT) | instid1(VALU_DEP_3)
	v_or_b32_e32 v14, 0x1000, v8
	v_lshrrev_b32_e32 v15, v11, v13
	s_delay_alu instid0(VALU_DEP_2) | instskip(NEXT) | instid1(VALU_DEP_2)
	v_lshrrev_b32_e32 v16, v6, v14
	v_lshlrev_b32_e32 v11, v11, v15
	s_delay_alu instid0(VALU_DEP_2) | instskip(NEXT) | instid1(VALU_DEP_2)
	v_lshlrev_b32_e32 v6, v6, v16
	v_cmp_ne_u32_e32 vcc_lo, v11, v13
	v_lshl_or_b32 v13, v10, 12, v4
	s_wait_alu 0xfffd
	v_cndmask_b32_e64 v11, 0, 1, vcc_lo
	v_cmp_ne_u32_e32 vcc_lo, v6, v14
	v_lshl_or_b32 v14, v12, 12, v8
	s_delay_alu instid0(VALU_DEP_3) | instskip(SKIP_3) | instid1(VALU_DEP_2)
	v_or_b32_e32 v11, v15, v11
	s_wait_alu 0xfffd
	v_cndmask_b32_e64 v6, 0, 1, vcc_lo
	v_cmp_gt_i32_e32 vcc_lo, 1, v10
	v_or_b32_e32 v6, v16, v6
	s_wait_alu 0xfffd
	v_cndmask_b32_e32 v11, v13, v11, vcc_lo
	v_cmp_gt_i32_e32 vcc_lo, 1, v12
	s_wait_alu 0xfffd
	s_delay_alu instid0(VALU_DEP_2) | instskip(SKIP_2) | instid1(VALU_DEP_3)
	v_dual_cndmask_b32 v6, v14, v6 :: v_dual_and_b32 v13, 7, v11
	v_cmp_ne_u32_e32 vcc_lo, 0, v4
	v_lshrrev_b32_e32 v11, 2, v11
	v_cmp_eq_u32_e64 s0, 3, v13
	s_delay_alu instid0(VALU_DEP_4)
	v_and_b32_e32 v14, 7, v6
	s_wait_alu 0xfffd
	v_cndmask_b32_e64 v4, 0, 1, vcc_lo
	v_cmp_ne_u32_e32 vcc_lo, 0, v8
	v_lshrrev_b32_e32 v6, 2, v6
	v_cmp_lt_i32_e64 s1, 5, v14
	v_cmp_eq_u32_e64 s2, 3, v14
	s_wait_alu 0xfffd
	v_cndmask_b32_e64 v8, 0, 1, vcc_lo
	v_cmp_lt_i32_e32 vcc_lo, 5, v13
	v_lshl_or_b32 v4, v4, 9, 0x7c00
	s_delay_alu instid0(VALU_DEP_3)
	v_lshl_or_b32 v8, v8, 9, 0x7c00
	s_or_b32 vcc_lo, s0, vcc_lo
	s_wait_alu 0xfffe
	v_add_co_ci_u32_e32 v11, vcc_lo, 0, v11, vcc_lo
	s_or_b32 vcc_lo, s2, s1
	s_wait_alu 0xfffe
	v_add_co_ci_u32_e32 v6, vcc_lo, 0, v6, vcc_lo
	v_cmp_gt_i32_e32 vcc_lo, 31, v10
	s_wait_alu 0xfffd
	v_cndmask_b32_e32 v11, 0x7c00, v11, vcc_lo
	v_cmp_gt_i32_e32 vcc_lo, 31, v12
	s_wait_alu 0xfffd
	v_cndmask_b32_e32 v6, 0x7c00, v6, vcc_lo
	v_cmp_eq_u32_e32 vcc_lo, 0x40f, v10
	s_wait_alu 0xfffd
	v_cndmask_b32_e32 v4, v11, v4, vcc_lo
	v_cmp_eq_u32_e32 vcc_lo, 0x40f, v12
	s_delay_alu instid0(VALU_DEP_2)
	v_and_or_b32 v4, 0x8000, v7, v4
	s_wait_alu 0xfffd
	v_cndmask_b32_e32 v6, v6, v8, vcc_lo
	v_add_co_u32 v2, vcc_lo, v2, s6
	s_wait_alu 0xfffd
	v_add_co_ci_u32_e32 v3, vcc_lo, s7, v3, vcc_lo
	s_delay_alu instid0(VALU_DEP_3) | instskip(SKIP_1) | instid1(VALU_DEP_1)
	v_and_or_b32 v6, 0x8000, v9, v6
	v_and_b32_e32 v4, 0xffff, v4
	v_lshl_or_b32 v4, v6, 16, v4
	v_lshrrev_b32_e32 v6, 16, v5
	global_store_b32 v[2:3], v4, off
	global_load_b32 v4, v48, s[12:13] offset:1792
	s_wait_loadcnt 0x0
	v_lshrrev_b32_e32 v7, 16, v4
	s_delay_alu instid0(VALU_DEP_1) | instskip(SKIP_1) | instid1(VALU_DEP_2)
	v_mul_f16_e32 v8, v6, v7
	v_mul_f16_e32 v7, v5, v7
	v_fmac_f16_e32 v8, v5, v4
	s_delay_alu instid0(VALU_DEP_2) | instskip(NEXT) | instid1(VALU_DEP_2)
	v_fma_f16 v4, v4, v6, -v7
	v_cvt_f32_f16_e32 v5, v8
	s_delay_alu instid0(VALU_DEP_2) | instskip(NEXT) | instid1(VALU_DEP_2)
	v_cvt_f32_f16_e32 v6, v4
	v_cvt_f64_f32_e32 v[4:5], v5
	s_delay_alu instid0(VALU_DEP_2) | instskip(NEXT) | instid1(VALU_DEP_2)
	v_cvt_f64_f32_e32 v[6:7], v6
	v_mul_f64_e32 v[4:5], s[8:9], v[4:5]
	s_delay_alu instid0(VALU_DEP_2) | instskip(NEXT) | instid1(VALU_DEP_2)
	v_mul_f64_e32 v[6:7], s[8:9], v[6:7]
	v_and_or_b32 v4, 0x1ff, v5, v4
	s_delay_alu instid0(VALU_DEP_2)
	v_and_or_b32 v6, 0x1ff, v7, v6
	v_lshrrev_b32_e32 v8, 8, v5
	v_bfe_u32 v9, v5, 20, 11
	v_lshrrev_b32_e32 v10, 8, v7
	v_cmp_ne_u32_e32 vcc_lo, 0, v4
	v_bfe_u32 v11, v7, 20, 11
	v_lshrrev_b32_e32 v5, 16, v5
	v_sub_nc_u32_e32 v12, 0x3f1, v9
	v_add_nc_u32_e32 v9, 0xfffffc10, v9
	s_wait_alu 0xfffd
	v_cndmask_b32_e64 v4, 0, 1, vcc_lo
	v_cmp_ne_u32_e32 vcc_lo, 0, v6
	v_lshrrev_b32_e32 v7, 16, v7
	s_delay_alu instid0(VALU_DEP_3) | instskip(SKIP_4) | instid1(VALU_DEP_3)
	v_and_or_b32 v4, 0xffe, v8, v4
	s_wait_alu 0xfffd
	v_cndmask_b32_e64 v6, 0, 1, vcc_lo
	v_sub_nc_u32_e32 v8, 0x3f1, v11
	v_add_nc_u32_e32 v11, 0xfffffc10, v11
	v_and_or_b32 v6, 0xffe, v10, v6
	v_med3_i32 v10, v12, 0, 13
	v_or_b32_e32 v12, 0x1000, v4
	v_med3_i32 v8, v8, 0, 13
	s_delay_alu instid0(VALU_DEP_4) | instskip(NEXT) | instid1(VALU_DEP_3)
	v_or_b32_e32 v13, 0x1000, v6
	v_lshrrev_b32_e32 v14, v10, v12
	s_delay_alu instid0(VALU_DEP_2) | instskip(NEXT) | instid1(VALU_DEP_2)
	v_lshrrev_b32_e32 v15, v8, v13
	v_lshlrev_b32_e32 v10, v10, v14
	s_delay_alu instid0(VALU_DEP_2) | instskip(NEXT) | instid1(VALU_DEP_2)
	v_lshlrev_b32_e32 v8, v8, v15
	v_cmp_ne_u32_e32 vcc_lo, v10, v12
	v_lshl_or_b32 v12, v9, 12, v4
	s_wait_alu 0xfffd
	v_cndmask_b32_e64 v10, 0, 1, vcc_lo
	v_cmp_ne_u32_e32 vcc_lo, v8, v13
	v_lshl_or_b32 v13, v11, 12, v6
	s_delay_alu instid0(VALU_DEP_3) | instskip(SKIP_3) | instid1(VALU_DEP_2)
	v_or_b32_e32 v10, v14, v10
	s_wait_alu 0xfffd
	v_cndmask_b32_e64 v8, 0, 1, vcc_lo
	v_cmp_gt_i32_e32 vcc_lo, 1, v9
	v_or_b32_e32 v8, v15, v8
	s_wait_alu 0xfffd
	v_cndmask_b32_e32 v10, v12, v10, vcc_lo
	v_cmp_gt_i32_e32 vcc_lo, 1, v11
	s_delay_alu instid0(VALU_DEP_2)
	v_and_b32_e32 v12, 7, v10
	s_wait_alu 0xfffd
	v_cndmask_b32_e32 v8, v13, v8, vcc_lo
	v_cmp_ne_u32_e32 vcc_lo, 0, v4
	v_lshrrev_b32_e32 v10, 2, v10
	v_cmp_eq_u32_e64 s0, 3, v12
	s_delay_alu instid0(VALU_DEP_4)
	v_and_b32_e32 v13, 7, v8
	s_wait_alu 0xfffd
	v_cndmask_b32_e64 v4, 0, 1, vcc_lo
	v_cmp_ne_u32_e32 vcc_lo, 0, v6
	v_lshrrev_b32_e32 v8, 2, v8
	v_cmp_lt_i32_e64 s1, 5, v13
	v_cmp_eq_u32_e64 s2, 3, v13
	s_wait_alu 0xfffd
	v_cndmask_b32_e64 v6, 0, 1, vcc_lo
	v_cmp_lt_i32_e32 vcc_lo, 5, v12
	v_lshl_or_b32 v4, v4, 9, 0x7c00
	s_delay_alu instid0(VALU_DEP_3)
	v_lshl_or_b32 v6, v6, 9, 0x7c00
	s_or_b32 vcc_lo, s0, vcc_lo
	s_wait_alu 0xfffe
	v_add_co_ci_u32_e32 v10, vcc_lo, 0, v10, vcc_lo
	s_or_b32 vcc_lo, s2, s1
	s_wait_alu 0xfffe
	v_add_co_ci_u32_e32 v8, vcc_lo, 0, v8, vcc_lo
	v_cmp_gt_i32_e32 vcc_lo, 31, v9
	s_wait_alu 0xfffd
	v_cndmask_b32_e32 v10, 0x7c00, v10, vcc_lo
	v_cmp_gt_i32_e32 vcc_lo, 31, v11
	s_wait_alu 0xfffd
	v_cndmask_b32_e32 v8, 0x7c00, v8, vcc_lo
	v_cmp_eq_u32_e32 vcc_lo, 0x40f, v9
	s_wait_alu 0xfffd
	v_cndmask_b32_e32 v4, v10, v4, vcc_lo
	v_cmp_eq_u32_e32 vcc_lo, 0x40f, v11
	s_delay_alu instid0(VALU_DEP_2)
	v_and_or_b32 v4, 0x8000, v5, v4
	s_wait_alu 0xfffd
	v_cndmask_b32_e32 v6, v8, v6, vcc_lo
	v_add_co_u32 v2, vcc_lo, v2, s6
	s_wait_alu 0xfffd
	v_add_co_ci_u32_e32 v3, vcc_lo, s7, v3, vcc_lo
	s_delay_alu instid0(VALU_DEP_3) | instskip(SKIP_1) | instid1(VALU_DEP_1)
	v_and_or_b32 v5, 0x8000, v7, v6
	v_and_b32_e32 v4, 0xffff, v4
	v_lshl_or_b32 v4, v5, 16, v4
	global_store_b32 v[2:3], v4, off
	global_load_b32 v6, v48, s[12:13] offset:2240
	v_add_nc_u32_e32 v4, 0x800, v48
	ds_load_2addr_b32 v[4:5], v4 offset0:48 offset1:160
	s_wait_dscnt 0x0
	v_lshrrev_b32_e32 v7, 16, v4
	s_wait_loadcnt 0x0
	v_lshrrev_b32_e32 v8, 16, v6
	s_delay_alu instid0(VALU_DEP_1) | instskip(SKIP_1) | instid1(VALU_DEP_2)
	v_mul_f16_e32 v9, v7, v8
	v_mul_f16_e32 v8, v4, v8
	v_fmac_f16_e32 v9, v4, v6
	s_delay_alu instid0(VALU_DEP_2) | instskip(NEXT) | instid1(VALU_DEP_2)
	v_fma_f16 v4, v6, v7, -v8
	v_cvt_f32_f16_e32 v6, v9
	s_delay_alu instid0(VALU_DEP_2) | instskip(NEXT) | instid1(VALU_DEP_2)
	v_cvt_f32_f16_e32 v4, v4
	v_cvt_f64_f32_e32 v[6:7], v6
	s_delay_alu instid0(VALU_DEP_2) | instskip(NEXT) | instid1(VALU_DEP_2)
	v_cvt_f64_f32_e32 v[8:9], v4
	v_mul_f64_e32 v[6:7], s[8:9], v[6:7]
	s_delay_alu instid0(VALU_DEP_2) | instskip(NEXT) | instid1(VALU_DEP_2)
	v_mul_f64_e32 v[8:9], s[8:9], v[8:9]
	v_and_or_b32 v4, 0x1ff, v7, v6
	s_delay_alu instid0(VALU_DEP_2)
	v_and_or_b32 v8, 0x1ff, v9, v8
	v_lshrrev_b32_e32 v6, 8, v7
	v_bfe_u32 v10, v7, 20, 11
	v_lshrrev_b32_e32 v11, 8, v9
	v_cmp_ne_u32_e32 vcc_lo, 0, v4
	v_bfe_u32 v12, v9, 20, 11
	v_lshrrev_b32_e32 v7, 16, v7
	v_sub_nc_u32_e32 v13, 0x3f1, v10
	v_add_nc_u32_e32 v10, 0xfffffc10, v10
	s_wait_alu 0xfffd
	v_cndmask_b32_e64 v4, 0, 1, vcc_lo
	v_cmp_ne_u32_e32 vcc_lo, 0, v8
	v_lshrrev_b32_e32 v9, 16, v9
	s_delay_alu instid0(VALU_DEP_3) | instskip(SKIP_4) | instid1(VALU_DEP_3)
	v_and_or_b32 v4, 0xffe, v6, v4
	s_wait_alu 0xfffd
	v_cndmask_b32_e64 v8, 0, 1, vcc_lo
	v_sub_nc_u32_e32 v6, 0x3f1, v12
	v_add_nc_u32_e32 v12, 0xfffffc10, v12
	v_and_or_b32 v8, 0xffe, v11, v8
	v_med3_i32 v11, v13, 0, 13
	v_or_b32_e32 v13, 0x1000, v4
	v_med3_i32 v6, v6, 0, 13
	s_delay_alu instid0(VALU_DEP_4) | instskip(NEXT) | instid1(VALU_DEP_3)
	v_or_b32_e32 v14, 0x1000, v8
	v_lshrrev_b32_e32 v15, v11, v13
	s_delay_alu instid0(VALU_DEP_2) | instskip(NEXT) | instid1(VALU_DEP_2)
	v_lshrrev_b32_e32 v16, v6, v14
	v_lshlrev_b32_e32 v11, v11, v15
	s_delay_alu instid0(VALU_DEP_2) | instskip(NEXT) | instid1(VALU_DEP_2)
	v_lshlrev_b32_e32 v6, v6, v16
	v_cmp_ne_u32_e32 vcc_lo, v11, v13
	v_lshl_or_b32 v13, v10, 12, v4
	s_wait_alu 0xfffd
	v_cndmask_b32_e64 v11, 0, 1, vcc_lo
	v_cmp_ne_u32_e32 vcc_lo, v6, v14
	v_lshl_or_b32 v14, v12, 12, v8
	s_delay_alu instid0(VALU_DEP_3) | instskip(SKIP_3) | instid1(VALU_DEP_2)
	v_or_b32_e32 v11, v15, v11
	s_wait_alu 0xfffd
	v_cndmask_b32_e64 v6, 0, 1, vcc_lo
	v_cmp_gt_i32_e32 vcc_lo, 1, v10
	v_or_b32_e32 v6, v16, v6
	s_wait_alu 0xfffd
	v_cndmask_b32_e32 v11, v13, v11, vcc_lo
	v_cmp_gt_i32_e32 vcc_lo, 1, v12
	s_wait_alu 0xfffd
	s_delay_alu instid0(VALU_DEP_2) | instskip(SKIP_2) | instid1(VALU_DEP_3)
	v_dual_cndmask_b32 v6, v14, v6 :: v_dual_and_b32 v13, 7, v11
	v_cmp_ne_u32_e32 vcc_lo, 0, v4
	v_lshrrev_b32_e32 v11, 2, v11
	v_cmp_eq_u32_e64 s0, 3, v13
	s_delay_alu instid0(VALU_DEP_4)
	v_and_b32_e32 v14, 7, v6
	s_wait_alu 0xfffd
	v_cndmask_b32_e64 v4, 0, 1, vcc_lo
	v_cmp_ne_u32_e32 vcc_lo, 0, v8
	v_lshrrev_b32_e32 v6, 2, v6
	v_cmp_lt_i32_e64 s1, 5, v14
	v_cmp_eq_u32_e64 s2, 3, v14
	s_wait_alu 0xfffd
	v_cndmask_b32_e64 v8, 0, 1, vcc_lo
	v_cmp_lt_i32_e32 vcc_lo, 5, v13
	v_lshl_or_b32 v4, v4, 9, 0x7c00
	s_delay_alu instid0(VALU_DEP_3)
	v_lshl_or_b32 v8, v8, 9, 0x7c00
	s_or_b32 vcc_lo, s0, vcc_lo
	s_wait_alu 0xfffe
	v_add_co_ci_u32_e32 v11, vcc_lo, 0, v11, vcc_lo
	s_or_b32 vcc_lo, s2, s1
	s_wait_alu 0xfffe
	v_add_co_ci_u32_e32 v6, vcc_lo, 0, v6, vcc_lo
	v_cmp_gt_i32_e32 vcc_lo, 31, v10
	s_wait_alu 0xfffd
	v_cndmask_b32_e32 v11, 0x7c00, v11, vcc_lo
	v_cmp_gt_i32_e32 vcc_lo, 31, v12
	s_wait_alu 0xfffd
	v_cndmask_b32_e32 v6, 0x7c00, v6, vcc_lo
	v_cmp_eq_u32_e32 vcc_lo, 0x40f, v10
	s_wait_alu 0xfffd
	v_cndmask_b32_e32 v4, v11, v4, vcc_lo
	v_cmp_eq_u32_e32 vcc_lo, 0x40f, v12
	s_delay_alu instid0(VALU_DEP_2)
	v_and_or_b32 v4, 0x8000, v7, v4
	s_wait_alu 0xfffd
	v_cndmask_b32_e32 v6, v6, v8, vcc_lo
	v_add_co_u32 v2, vcc_lo, v2, s6
	s_wait_alu 0xfffd
	v_add_co_ci_u32_e32 v3, vcc_lo, s7, v3, vcc_lo
	s_delay_alu instid0(VALU_DEP_3) | instskip(SKIP_1) | instid1(VALU_DEP_1)
	v_and_or_b32 v6, 0x8000, v9, v6
	v_and_b32_e32 v4, 0xffff, v4
	v_lshl_or_b32 v4, v6, 16, v4
	v_lshrrev_b32_e32 v6, 16, v5
	global_store_b32 v[2:3], v4, off
	global_load_b32 v4, v48, s[12:13] offset:2688
	s_wait_loadcnt 0x0
	v_lshrrev_b32_e32 v7, 16, v4
	s_delay_alu instid0(VALU_DEP_1) | instskip(SKIP_1) | instid1(VALU_DEP_2)
	v_mul_f16_e32 v8, v6, v7
	v_mul_f16_e32 v7, v5, v7
	v_fmac_f16_e32 v8, v5, v4
	s_delay_alu instid0(VALU_DEP_2) | instskip(NEXT) | instid1(VALU_DEP_2)
	v_fma_f16 v4, v4, v6, -v7
	v_cvt_f32_f16_e32 v5, v8
	s_delay_alu instid0(VALU_DEP_2) | instskip(NEXT) | instid1(VALU_DEP_2)
	v_cvt_f32_f16_e32 v6, v4
	v_cvt_f64_f32_e32 v[4:5], v5
	s_delay_alu instid0(VALU_DEP_2) | instskip(NEXT) | instid1(VALU_DEP_2)
	v_cvt_f64_f32_e32 v[6:7], v6
	v_mul_f64_e32 v[4:5], s[8:9], v[4:5]
	s_delay_alu instid0(VALU_DEP_2) | instskip(NEXT) | instid1(VALU_DEP_2)
	v_mul_f64_e32 v[6:7], s[8:9], v[6:7]
	v_and_or_b32 v4, 0x1ff, v5, v4
	s_delay_alu instid0(VALU_DEP_2)
	v_and_or_b32 v6, 0x1ff, v7, v6
	v_lshrrev_b32_e32 v8, 8, v5
	v_bfe_u32 v9, v5, 20, 11
	v_lshrrev_b32_e32 v10, 8, v7
	v_cmp_ne_u32_e32 vcc_lo, 0, v4
	v_bfe_u32 v11, v7, 20, 11
	v_lshrrev_b32_e32 v5, 16, v5
	v_sub_nc_u32_e32 v12, 0x3f1, v9
	v_add_nc_u32_e32 v9, 0xfffffc10, v9
	s_wait_alu 0xfffd
	v_cndmask_b32_e64 v4, 0, 1, vcc_lo
	v_cmp_ne_u32_e32 vcc_lo, 0, v6
	v_lshrrev_b32_e32 v7, 16, v7
	s_delay_alu instid0(VALU_DEP_3) | instskip(SKIP_4) | instid1(VALU_DEP_3)
	v_and_or_b32 v4, 0xffe, v8, v4
	s_wait_alu 0xfffd
	v_cndmask_b32_e64 v6, 0, 1, vcc_lo
	v_sub_nc_u32_e32 v8, 0x3f1, v11
	v_add_nc_u32_e32 v11, 0xfffffc10, v11
	v_and_or_b32 v6, 0xffe, v10, v6
	v_med3_i32 v10, v12, 0, 13
	v_or_b32_e32 v12, 0x1000, v4
	v_med3_i32 v8, v8, 0, 13
	s_delay_alu instid0(VALU_DEP_4) | instskip(NEXT) | instid1(VALU_DEP_3)
	v_or_b32_e32 v13, 0x1000, v6
	v_lshrrev_b32_e32 v14, v10, v12
	s_delay_alu instid0(VALU_DEP_2) | instskip(NEXT) | instid1(VALU_DEP_2)
	v_lshrrev_b32_e32 v15, v8, v13
	v_lshlrev_b32_e32 v10, v10, v14
	s_delay_alu instid0(VALU_DEP_2) | instskip(NEXT) | instid1(VALU_DEP_2)
	v_lshlrev_b32_e32 v8, v8, v15
	v_cmp_ne_u32_e32 vcc_lo, v10, v12
	v_lshl_or_b32 v12, v9, 12, v4
	s_wait_alu 0xfffd
	v_cndmask_b32_e64 v10, 0, 1, vcc_lo
	v_cmp_ne_u32_e32 vcc_lo, v8, v13
	v_lshl_or_b32 v13, v11, 12, v6
	s_delay_alu instid0(VALU_DEP_3) | instskip(SKIP_3) | instid1(VALU_DEP_2)
	v_or_b32_e32 v10, v14, v10
	s_wait_alu 0xfffd
	v_cndmask_b32_e64 v8, 0, 1, vcc_lo
	v_cmp_gt_i32_e32 vcc_lo, 1, v9
	v_or_b32_e32 v8, v15, v8
	s_wait_alu 0xfffd
	v_cndmask_b32_e32 v10, v12, v10, vcc_lo
	v_cmp_gt_i32_e32 vcc_lo, 1, v11
	s_delay_alu instid0(VALU_DEP_2)
	v_and_b32_e32 v12, 7, v10
	s_wait_alu 0xfffd
	v_cndmask_b32_e32 v8, v13, v8, vcc_lo
	v_cmp_ne_u32_e32 vcc_lo, 0, v4
	v_lshrrev_b32_e32 v10, 2, v10
	v_cmp_eq_u32_e64 s0, 3, v12
	s_delay_alu instid0(VALU_DEP_4)
	v_and_b32_e32 v13, 7, v8
	s_wait_alu 0xfffd
	v_cndmask_b32_e64 v4, 0, 1, vcc_lo
	v_cmp_ne_u32_e32 vcc_lo, 0, v6
	v_lshrrev_b32_e32 v8, 2, v8
	v_cmp_lt_i32_e64 s1, 5, v13
	v_cmp_eq_u32_e64 s2, 3, v13
	s_wait_alu 0xfffd
	v_cndmask_b32_e64 v6, 0, 1, vcc_lo
	v_cmp_lt_i32_e32 vcc_lo, 5, v12
	v_lshl_or_b32 v4, v4, 9, 0x7c00
	s_delay_alu instid0(VALU_DEP_3)
	v_lshl_or_b32 v6, v6, 9, 0x7c00
	s_or_b32 vcc_lo, s0, vcc_lo
	s_wait_alu 0xfffe
	v_add_co_ci_u32_e32 v10, vcc_lo, 0, v10, vcc_lo
	s_or_b32 vcc_lo, s2, s1
	s_wait_alu 0xfffe
	v_add_co_ci_u32_e32 v8, vcc_lo, 0, v8, vcc_lo
	v_cmp_gt_i32_e32 vcc_lo, 31, v9
	s_wait_alu 0xfffd
	v_cndmask_b32_e32 v10, 0x7c00, v10, vcc_lo
	v_cmp_gt_i32_e32 vcc_lo, 31, v11
	s_wait_alu 0xfffd
	v_cndmask_b32_e32 v8, 0x7c00, v8, vcc_lo
	v_cmp_eq_u32_e32 vcc_lo, 0x40f, v9
	s_wait_alu 0xfffd
	v_cndmask_b32_e32 v4, v10, v4, vcc_lo
	v_cmp_eq_u32_e32 vcc_lo, 0x40f, v11
	s_delay_alu instid0(VALU_DEP_2)
	v_and_or_b32 v4, 0x8000, v5, v4
	s_wait_alu 0xfffd
	v_cndmask_b32_e32 v6, v8, v6, vcc_lo
	v_add_co_u32 v2, vcc_lo, v2, s6
	s_wait_alu 0xfffd
	v_add_co_ci_u32_e32 v3, vcc_lo, s7, v3, vcc_lo
	s_delay_alu instid0(VALU_DEP_3) | instskip(SKIP_1) | instid1(VALU_DEP_1)
	v_and_or_b32 v5, 0x8000, v7, v6
	v_and_b32_e32 v4, 0xffff, v4
	v_lshl_or_b32 v4, v5, 16, v4
	global_store_b32 v[2:3], v4, off
	global_load_b32 v6, v48, s[12:13] offset:3136
	v_add_nc_u32_e32 v4, 0xc00, v48
	ds_load_2addr_b32 v[4:5], v4 offset0:16 offset1:128
	s_wait_dscnt 0x0
	v_lshrrev_b32_e32 v7, 16, v4
	s_wait_loadcnt 0x0
	v_lshrrev_b32_e32 v8, 16, v6
	s_delay_alu instid0(VALU_DEP_1) | instskip(SKIP_1) | instid1(VALU_DEP_2)
	v_mul_f16_e32 v9, v7, v8
	v_mul_f16_e32 v8, v4, v8
	v_fmac_f16_e32 v9, v4, v6
	s_delay_alu instid0(VALU_DEP_2) | instskip(NEXT) | instid1(VALU_DEP_2)
	v_fma_f16 v4, v6, v7, -v8
	v_cvt_f32_f16_e32 v6, v9
	s_delay_alu instid0(VALU_DEP_2) | instskip(NEXT) | instid1(VALU_DEP_2)
	v_cvt_f32_f16_e32 v4, v4
	v_cvt_f64_f32_e32 v[6:7], v6
	s_delay_alu instid0(VALU_DEP_2) | instskip(NEXT) | instid1(VALU_DEP_2)
	v_cvt_f64_f32_e32 v[8:9], v4
	v_mul_f64_e32 v[6:7], s[8:9], v[6:7]
	s_delay_alu instid0(VALU_DEP_2) | instskip(NEXT) | instid1(VALU_DEP_2)
	v_mul_f64_e32 v[8:9], s[8:9], v[8:9]
	v_and_or_b32 v4, 0x1ff, v7, v6
	s_delay_alu instid0(VALU_DEP_2)
	v_and_or_b32 v8, 0x1ff, v9, v8
	v_lshrrev_b32_e32 v6, 8, v7
	v_bfe_u32 v10, v7, 20, 11
	v_lshrrev_b32_e32 v11, 8, v9
	v_cmp_ne_u32_e32 vcc_lo, 0, v4
	v_bfe_u32 v12, v9, 20, 11
	v_lshrrev_b32_e32 v7, 16, v7
	v_sub_nc_u32_e32 v13, 0x3f1, v10
	v_add_nc_u32_e32 v10, 0xfffffc10, v10
	s_wait_alu 0xfffd
	v_cndmask_b32_e64 v4, 0, 1, vcc_lo
	v_cmp_ne_u32_e32 vcc_lo, 0, v8
	v_lshrrev_b32_e32 v9, 16, v9
	s_delay_alu instid0(VALU_DEP_3) | instskip(SKIP_4) | instid1(VALU_DEP_3)
	v_and_or_b32 v4, 0xffe, v6, v4
	s_wait_alu 0xfffd
	v_cndmask_b32_e64 v8, 0, 1, vcc_lo
	v_sub_nc_u32_e32 v6, 0x3f1, v12
	v_add_nc_u32_e32 v12, 0xfffffc10, v12
	v_and_or_b32 v8, 0xffe, v11, v8
	v_med3_i32 v11, v13, 0, 13
	v_or_b32_e32 v13, 0x1000, v4
	v_med3_i32 v6, v6, 0, 13
	s_delay_alu instid0(VALU_DEP_4) | instskip(NEXT) | instid1(VALU_DEP_3)
	v_or_b32_e32 v14, 0x1000, v8
	v_lshrrev_b32_e32 v15, v11, v13
	s_delay_alu instid0(VALU_DEP_2) | instskip(NEXT) | instid1(VALU_DEP_2)
	v_lshrrev_b32_e32 v16, v6, v14
	v_lshlrev_b32_e32 v11, v11, v15
	s_delay_alu instid0(VALU_DEP_2) | instskip(NEXT) | instid1(VALU_DEP_2)
	v_lshlrev_b32_e32 v6, v6, v16
	v_cmp_ne_u32_e32 vcc_lo, v11, v13
	v_lshl_or_b32 v13, v10, 12, v4
	s_wait_alu 0xfffd
	v_cndmask_b32_e64 v11, 0, 1, vcc_lo
	v_cmp_ne_u32_e32 vcc_lo, v6, v14
	v_lshl_or_b32 v14, v12, 12, v8
	s_delay_alu instid0(VALU_DEP_3) | instskip(SKIP_3) | instid1(VALU_DEP_2)
	v_or_b32_e32 v11, v15, v11
	s_wait_alu 0xfffd
	v_cndmask_b32_e64 v6, 0, 1, vcc_lo
	v_cmp_gt_i32_e32 vcc_lo, 1, v10
	v_or_b32_e32 v6, v16, v6
	s_wait_alu 0xfffd
	v_cndmask_b32_e32 v11, v13, v11, vcc_lo
	v_cmp_gt_i32_e32 vcc_lo, 1, v12
	s_wait_alu 0xfffd
	s_delay_alu instid0(VALU_DEP_2) | instskip(SKIP_2) | instid1(VALU_DEP_3)
	v_dual_cndmask_b32 v6, v14, v6 :: v_dual_and_b32 v13, 7, v11
	v_cmp_ne_u32_e32 vcc_lo, 0, v4
	v_lshrrev_b32_e32 v11, 2, v11
	v_cmp_eq_u32_e64 s0, 3, v13
	s_delay_alu instid0(VALU_DEP_4)
	v_and_b32_e32 v14, 7, v6
	s_wait_alu 0xfffd
	v_cndmask_b32_e64 v4, 0, 1, vcc_lo
	v_cmp_ne_u32_e32 vcc_lo, 0, v8
	v_lshrrev_b32_e32 v6, 2, v6
	v_cmp_lt_i32_e64 s1, 5, v14
	v_cmp_eq_u32_e64 s2, 3, v14
	s_wait_alu 0xfffd
	v_cndmask_b32_e64 v8, 0, 1, vcc_lo
	v_cmp_lt_i32_e32 vcc_lo, 5, v13
	v_lshl_or_b32 v4, v4, 9, 0x7c00
	s_delay_alu instid0(VALU_DEP_3)
	v_lshl_or_b32 v8, v8, 9, 0x7c00
	s_or_b32 vcc_lo, s0, vcc_lo
	s_wait_alu 0xfffe
	v_add_co_ci_u32_e32 v11, vcc_lo, 0, v11, vcc_lo
	s_or_b32 vcc_lo, s2, s1
	s_wait_alu 0xfffe
	v_add_co_ci_u32_e32 v6, vcc_lo, 0, v6, vcc_lo
	v_cmp_gt_i32_e32 vcc_lo, 31, v10
	s_wait_alu 0xfffd
	v_cndmask_b32_e32 v11, 0x7c00, v11, vcc_lo
	v_cmp_gt_i32_e32 vcc_lo, 31, v12
	s_wait_alu 0xfffd
	v_cndmask_b32_e32 v6, 0x7c00, v6, vcc_lo
	v_cmp_eq_u32_e32 vcc_lo, 0x40f, v10
	s_wait_alu 0xfffd
	v_cndmask_b32_e32 v4, v11, v4, vcc_lo
	v_cmp_eq_u32_e32 vcc_lo, 0x40f, v12
	s_delay_alu instid0(VALU_DEP_2)
	v_and_or_b32 v4, 0x8000, v7, v4
	s_wait_alu 0xfffd
	v_cndmask_b32_e32 v6, v6, v8, vcc_lo
	v_add_co_u32 v2, vcc_lo, v2, s6
	s_wait_alu 0xfffd
	v_add_co_ci_u32_e32 v3, vcc_lo, s7, v3, vcc_lo
	s_delay_alu instid0(VALU_DEP_3) | instskip(SKIP_1) | instid1(VALU_DEP_1)
	v_and_or_b32 v6, 0x8000, v9, v6
	v_and_b32_e32 v4, 0xffff, v4
	v_lshl_or_b32 v4, v6, 16, v4
	v_lshrrev_b32_e32 v6, 16, v5
	global_store_b32 v[2:3], v4, off
	global_load_b32 v4, v48, s[12:13] offset:3584
	v_mad_co_u64_u32 v[2:3], null, 0x380, s4, v[2:3]
	s_wait_loadcnt 0x0
	v_lshrrev_b32_e32 v7, 16, v4
	s_delay_alu instid0(VALU_DEP_1) | instskip(SKIP_1) | instid1(VALU_DEP_2)
	v_mul_f16_e32 v8, v6, v7
	v_mul_f16_e32 v7, v5, v7
	v_fmac_f16_e32 v8, v5, v4
	s_delay_alu instid0(VALU_DEP_2) | instskip(NEXT) | instid1(VALU_DEP_2)
	v_fma_f16 v4, v4, v6, -v7
	v_cvt_f32_f16_e32 v5, v8
	s_delay_alu instid0(VALU_DEP_2) | instskip(NEXT) | instid1(VALU_DEP_2)
	v_cvt_f32_f16_e32 v6, v4
	v_cvt_f64_f32_e32 v[4:5], v5
	s_delay_alu instid0(VALU_DEP_2) | instskip(NEXT) | instid1(VALU_DEP_2)
	v_cvt_f64_f32_e32 v[6:7], v6
	v_mul_f64_e32 v[4:5], s[8:9], v[4:5]
	s_delay_alu instid0(VALU_DEP_2) | instskip(NEXT) | instid1(VALU_DEP_2)
	v_mul_f64_e32 v[6:7], s[8:9], v[6:7]
	v_and_or_b32 v4, 0x1ff, v5, v4
	s_delay_alu instid0(VALU_DEP_2)
	v_and_or_b32 v6, 0x1ff, v7, v6
	v_lshrrev_b32_e32 v8, 8, v5
	v_bfe_u32 v10, v5, 20, 11
	v_bfe_u32 v11, v7, 20, 11
	v_cmp_ne_u32_e32 vcc_lo, 0, v4
	v_lshrrev_b32_e32 v9, 8, v7
	v_lshrrev_b32_e32 v7, 16, v7
	v_sub_nc_u32_e32 v12, 0x3f1, v10
	v_sub_nc_u32_e32 v13, 0x3f1, v11
	s_wait_alu 0xfffd
	v_cndmask_b32_e64 v4, 0, 1, vcc_lo
	v_cmp_ne_u32_e32 vcc_lo, 0, v6
	v_add_nc_u32_e32 v11, 0xfffffc10, v11
	s_delay_alu instid0(VALU_DEP_3)
	v_and_or_b32 v14, 0xffe, v8, v4
	s_wait_alu 0xfffd
	v_cndmask_b32_e64 v6, 0, 1, vcc_lo
	v_med3_i32 v4, v12, 0, 13
	v_med3_i32 v12, v13, 0, 13
	v_or_b32_e32 v13, 0x1000, v14
	s_delay_alu instid0(VALU_DEP_4) | instskip(SKIP_1) | instid1(VALU_DEP_3)
	v_and_or_b32 v6, 0xffe, v9, v6
	v_mad_co_u64_u32 v[8:9], null, s4, v19, 0
	v_lshrrev_b32_e32 v16, v4, v13
	s_delay_alu instid0(VALU_DEP_3) | instskip(NEXT) | instid1(VALU_DEP_2)
	v_or_b32_e32 v15, 0x1000, v6
	v_lshlrev_b32_e32 v18, v4, v16
	s_delay_alu instid0(VALU_DEP_2) | instskip(SKIP_1) | instid1(VALU_DEP_3)
	v_lshrrev_b32_e32 v17, v12, v15
	v_mov_b32_e32 v4, v9
	v_cmp_ne_u32_e32 vcc_lo, v18, v13
	s_delay_alu instid0(VALU_DEP_3) | instskip(SKIP_3) | instid1(VALU_DEP_3)
	v_lshlrev_b32_e32 v9, v12, v17
	v_add_nc_u32_e32 v12, 0xfffffc10, v10
	s_wait_alu 0xfffd
	v_cndmask_b32_e64 v13, 0, 1, vcc_lo
	v_cmp_ne_u32_e32 vcc_lo, v9, v15
	v_mad_co_u64_u32 v[9:10], null, s5, v19, v[4:5]
	v_lshl_or_b32 v4, v12, 12, v14
	s_delay_alu instid0(VALU_DEP_4)
	v_or_b32_e32 v10, v16, v13
	s_wait_alu 0xfffd
	v_cndmask_b32_e64 v15, 0, 1, vcc_lo
	v_cmp_gt_i32_e32 vcc_lo, 1, v12
	v_lshl_or_b32 v13, v11, 12, v6
	v_lshrrev_b32_e32 v5, 16, v5
	s_delay_alu instid0(VALU_DEP_4)
	v_or_b32_e32 v15, v17, v15
	s_wait_alu 0xfffd
	v_cndmask_b32_e32 v4, v4, v10, vcc_lo
	v_cmp_gt_i32_e32 vcc_lo, 1, v11
	s_wait_alu 0xfffd
	v_cndmask_b32_e32 v10, v13, v15, vcc_lo
	v_cmp_ne_u32_e32 vcc_lo, 0, v14
	v_and_b32_e32 v14, 7, v4
	v_lshrrev_b32_e32 v4, 2, v4
	s_delay_alu instid0(VALU_DEP_4)
	v_and_b32_e32 v15, 7, v10
	s_wait_alu 0xfffd
	v_cndmask_b32_e64 v13, 0, 1, vcc_lo
	v_cmp_ne_u32_e32 vcc_lo, 0, v6
	v_cmp_eq_u32_e64 s0, 3, v14
	v_lshrrev_b32_e32 v10, 2, v10
	v_cmp_lt_i32_e64 s1, 5, v15
	v_cmp_eq_u32_e64 s2, 3, v15
	s_wait_alu 0xfffd
	v_cndmask_b32_e64 v6, 0, 1, vcc_lo
	v_cmp_lt_i32_e32 vcc_lo, 5, v14
	v_lshl_or_b32 v13, v13, 9, 0x7c00
	s_delay_alu instid0(VALU_DEP_3)
	v_lshl_or_b32 v6, v6, 9, 0x7c00
	s_or_b32 vcc_lo, s0, vcc_lo
	s_wait_alu 0xfffe
	v_add_co_ci_u32_e32 v4, vcc_lo, 0, v4, vcc_lo
	s_or_b32 vcc_lo, s2, s1
	s_wait_alu 0xfffe
	v_add_co_ci_u32_e32 v10, vcc_lo, 0, v10, vcc_lo
	v_cmp_gt_i32_e32 vcc_lo, 31, v12
	s_wait_alu 0xfffd
	v_cndmask_b32_e32 v4, 0x7c00, v4, vcc_lo
	v_cmp_gt_i32_e32 vcc_lo, 31, v11
	s_wait_alu 0xfffd
	v_cndmask_b32_e32 v10, 0x7c00, v10, vcc_lo
	v_cmp_eq_u32_e32 vcc_lo, 0x40f, v12
	s_wait_alu 0xfffd
	v_cndmask_b32_e32 v4, v4, v13, vcc_lo
	v_cmp_eq_u32_e32 vcc_lo, 0x40f, v11
	s_wait_alu 0xfffd
	v_cndmask_b32_e32 v6, v10, v6, vcc_lo
	s_delay_alu instid0(VALU_DEP_3) | instskip(SKIP_1) | instid1(VALU_DEP_3)
	v_and_or_b32 v10, 0x8000, v5, v4
	v_lshlrev_b64_e32 v[4:5], 2, v[8:9]
	v_and_or_b32 v6, 0x8000, v7, v6
	s_delay_alu instid0(VALU_DEP_3) | instskip(NEXT) | instid1(VALU_DEP_3)
	v_and_b32_e32 v7, 0xffff, v10
	v_add_co_u32 v4, vcc_lo, v0, v4
	s_wait_alu 0xfffd
	s_delay_alu instid0(VALU_DEP_4) | instskip(NEXT) | instid1(VALU_DEP_3)
	v_add_co_ci_u32_e32 v5, vcc_lo, v1, v5, vcc_lo
	v_lshl_or_b32 v6, v6, 16, v7
	global_store_b32 v[4:5], v6, off
	global_load_b32 v6, v48, s[12:13] offset:4032
	v_add_nc_u32_e32 v4, 0xe00, v48
	ds_load_2addr_b32 v[4:5], v4 offset0:112 offset1:224
	s_wait_dscnt 0x0
	v_lshrrev_b32_e32 v7, 16, v4
	s_wait_loadcnt 0x0
	v_lshrrev_b32_e32 v8, 16, v6
	s_delay_alu instid0(VALU_DEP_1) | instskip(SKIP_1) | instid1(VALU_DEP_2)
	v_mul_f16_e32 v9, v7, v8
	v_mul_f16_e32 v8, v4, v8
	v_fmac_f16_e32 v9, v4, v6
	s_delay_alu instid0(VALU_DEP_2) | instskip(NEXT) | instid1(VALU_DEP_2)
	v_fma_f16 v4, v6, v7, -v8
	v_cvt_f32_f16_e32 v6, v9
	s_delay_alu instid0(VALU_DEP_2) | instskip(NEXT) | instid1(VALU_DEP_2)
	v_cvt_f32_f16_e32 v4, v4
	v_cvt_f64_f32_e32 v[6:7], v6
	s_delay_alu instid0(VALU_DEP_2) | instskip(NEXT) | instid1(VALU_DEP_2)
	v_cvt_f64_f32_e32 v[8:9], v4
	v_mul_f64_e32 v[6:7], s[8:9], v[6:7]
	s_delay_alu instid0(VALU_DEP_2) | instskip(NEXT) | instid1(VALU_DEP_2)
	v_mul_f64_e32 v[8:9], s[8:9], v[8:9]
	v_and_or_b32 v4, 0x1ff, v7, v6
	s_delay_alu instid0(VALU_DEP_2)
	v_and_or_b32 v8, 0x1ff, v9, v8
	v_lshrrev_b32_e32 v6, 8, v7
	v_bfe_u32 v10, v7, 20, 11
	v_lshrrev_b32_e32 v11, 8, v9
	v_cmp_ne_u32_e32 vcc_lo, 0, v4
	v_bfe_u32 v12, v9, 20, 11
	v_lshrrev_b32_e32 v7, 16, v7
	v_sub_nc_u32_e32 v13, 0x3f1, v10
	v_add_nc_u32_e32 v10, 0xfffffc10, v10
	s_wait_alu 0xfffd
	v_cndmask_b32_e64 v4, 0, 1, vcc_lo
	v_cmp_ne_u32_e32 vcc_lo, 0, v8
	v_lshrrev_b32_e32 v9, 16, v9
	s_delay_alu instid0(VALU_DEP_3) | instskip(SKIP_4) | instid1(VALU_DEP_3)
	v_and_or_b32 v4, 0xffe, v6, v4
	s_wait_alu 0xfffd
	v_cndmask_b32_e64 v8, 0, 1, vcc_lo
	v_sub_nc_u32_e32 v6, 0x3f1, v12
	v_add_nc_u32_e32 v12, 0xfffffc10, v12
	v_and_or_b32 v8, 0xffe, v11, v8
	v_med3_i32 v11, v13, 0, 13
	v_or_b32_e32 v13, 0x1000, v4
	v_med3_i32 v6, v6, 0, 13
	s_delay_alu instid0(VALU_DEP_4) | instskip(NEXT) | instid1(VALU_DEP_3)
	v_or_b32_e32 v14, 0x1000, v8
	v_lshrrev_b32_e32 v15, v11, v13
	s_delay_alu instid0(VALU_DEP_2) | instskip(NEXT) | instid1(VALU_DEP_2)
	v_lshrrev_b32_e32 v16, v6, v14
	v_lshlrev_b32_e32 v11, v11, v15
	s_delay_alu instid0(VALU_DEP_2) | instskip(NEXT) | instid1(VALU_DEP_2)
	v_lshlrev_b32_e32 v6, v6, v16
	v_cmp_ne_u32_e32 vcc_lo, v11, v13
	v_lshl_or_b32 v13, v10, 12, v4
	s_wait_alu 0xfffd
	v_cndmask_b32_e64 v11, 0, 1, vcc_lo
	v_cmp_ne_u32_e32 vcc_lo, v6, v14
	v_lshl_or_b32 v14, v12, 12, v8
	s_delay_alu instid0(VALU_DEP_3) | instskip(SKIP_3) | instid1(VALU_DEP_2)
	v_or_b32_e32 v11, v15, v11
	s_wait_alu 0xfffd
	v_cndmask_b32_e64 v6, 0, 1, vcc_lo
	v_cmp_gt_i32_e32 vcc_lo, 1, v10
	v_or_b32_e32 v6, v16, v6
	s_wait_alu 0xfffd
	v_cndmask_b32_e32 v11, v13, v11, vcc_lo
	v_cmp_gt_i32_e32 vcc_lo, 1, v12
	s_wait_alu 0xfffd
	s_delay_alu instid0(VALU_DEP_2) | instskip(SKIP_2) | instid1(VALU_DEP_3)
	v_dual_cndmask_b32 v6, v14, v6 :: v_dual_and_b32 v13, 7, v11
	v_cmp_ne_u32_e32 vcc_lo, 0, v4
	v_lshrrev_b32_e32 v11, 2, v11
	v_cmp_eq_u32_e64 s0, 3, v13
	s_delay_alu instid0(VALU_DEP_4)
	v_and_b32_e32 v14, 7, v6
	s_wait_alu 0xfffd
	v_cndmask_b32_e64 v4, 0, 1, vcc_lo
	v_cmp_ne_u32_e32 vcc_lo, 0, v8
	v_lshrrev_b32_e32 v6, 2, v6
	v_cmp_lt_i32_e64 s1, 5, v14
	v_cmp_eq_u32_e64 s2, 3, v14
	s_wait_alu 0xfffd
	v_cndmask_b32_e64 v8, 0, 1, vcc_lo
	v_cmp_lt_i32_e32 vcc_lo, 5, v13
	v_lshl_or_b32 v4, v4, 9, 0x7c00
	s_delay_alu instid0(VALU_DEP_3)
	v_lshl_or_b32 v8, v8, 9, 0x7c00
	s_or_b32 vcc_lo, s0, vcc_lo
	s_wait_alu 0xfffe
	v_add_co_ci_u32_e32 v11, vcc_lo, 0, v11, vcc_lo
	s_or_b32 vcc_lo, s2, s1
	s_wait_alu 0xfffe
	v_add_co_ci_u32_e32 v6, vcc_lo, 0, v6, vcc_lo
	v_cmp_gt_i32_e32 vcc_lo, 31, v10
	s_wait_alu 0xfffd
	v_cndmask_b32_e32 v11, 0x7c00, v11, vcc_lo
	v_cmp_gt_i32_e32 vcc_lo, 31, v12
	s_wait_alu 0xfffd
	v_cndmask_b32_e32 v6, 0x7c00, v6, vcc_lo
	v_cmp_eq_u32_e32 vcc_lo, 0x40f, v10
	s_wait_alu 0xfffd
	v_cndmask_b32_e32 v4, v11, v4, vcc_lo
	v_cmp_eq_u32_e32 vcc_lo, 0x40f, v12
	s_delay_alu instid0(VALU_DEP_2) | instskip(SKIP_3) | instid1(VALU_DEP_2)
	v_and_or_b32 v7, 0x8000, v7, v4
	s_wait_alu 0xfffd
	v_cndmask_b32_e32 v6, v6, v8, vcc_lo
	v_mad_co_u64_u32 v[3:4], null, 0x380, s5, v[3:4]
	v_and_or_b32 v4, 0x8000, v9, v6
	v_and_b32_e32 v6, 0xffff, v7
	s_delay_alu instid0(VALU_DEP_1)
	v_lshl_or_b32 v4, v4, 16, v6
	v_lshrrev_b32_e32 v6, 16, v5
	global_store_b32 v[2:3], v4, off
	global_load_b32 v4, v48, s[12:13] offset:4480
	s_wait_loadcnt 0x0
	v_lshrrev_b32_e32 v7, 16, v4
	s_delay_alu instid0(VALU_DEP_1) | instskip(SKIP_1) | instid1(VALU_DEP_2)
	v_mul_f16_e32 v8, v6, v7
	v_mul_f16_e32 v7, v5, v7
	v_fmac_f16_e32 v8, v5, v4
	s_delay_alu instid0(VALU_DEP_2) | instskip(NEXT) | instid1(VALU_DEP_2)
	v_fma_f16 v4, v4, v6, -v7
	v_cvt_f32_f16_e32 v5, v8
	s_delay_alu instid0(VALU_DEP_2) | instskip(NEXT) | instid1(VALU_DEP_2)
	v_cvt_f32_f16_e32 v6, v4
	v_cvt_f64_f32_e32 v[4:5], v5
	s_delay_alu instid0(VALU_DEP_2) | instskip(NEXT) | instid1(VALU_DEP_2)
	v_cvt_f64_f32_e32 v[6:7], v6
	v_mul_f64_e32 v[4:5], s[8:9], v[4:5]
	s_delay_alu instid0(VALU_DEP_2) | instskip(NEXT) | instid1(VALU_DEP_2)
	v_mul_f64_e32 v[6:7], s[8:9], v[6:7]
	v_and_or_b32 v4, 0x1ff, v5, v4
	s_delay_alu instid0(VALU_DEP_2)
	v_and_or_b32 v6, 0x1ff, v7, v6
	v_lshrrev_b32_e32 v8, 8, v5
	v_bfe_u32 v9, v5, 20, 11
	v_lshrrev_b32_e32 v10, 8, v7
	v_cmp_ne_u32_e32 vcc_lo, 0, v4
	v_bfe_u32 v11, v7, 20, 11
	v_lshrrev_b32_e32 v5, 16, v5
	v_sub_nc_u32_e32 v12, 0x3f1, v9
	v_add_nc_u32_e32 v9, 0xfffffc10, v9
	s_wait_alu 0xfffd
	v_cndmask_b32_e64 v4, 0, 1, vcc_lo
	v_cmp_ne_u32_e32 vcc_lo, 0, v6
	v_lshrrev_b32_e32 v7, 16, v7
	s_delay_alu instid0(VALU_DEP_3) | instskip(SKIP_4) | instid1(VALU_DEP_3)
	v_and_or_b32 v4, 0xffe, v8, v4
	s_wait_alu 0xfffd
	v_cndmask_b32_e64 v6, 0, 1, vcc_lo
	v_sub_nc_u32_e32 v8, 0x3f1, v11
	v_add_nc_u32_e32 v11, 0xfffffc10, v11
	v_and_or_b32 v6, 0xffe, v10, v6
	v_med3_i32 v10, v12, 0, 13
	v_or_b32_e32 v12, 0x1000, v4
	v_med3_i32 v8, v8, 0, 13
	s_delay_alu instid0(VALU_DEP_4) | instskip(NEXT) | instid1(VALU_DEP_3)
	v_or_b32_e32 v13, 0x1000, v6
	v_lshrrev_b32_e32 v14, v10, v12
	s_delay_alu instid0(VALU_DEP_2) | instskip(NEXT) | instid1(VALU_DEP_2)
	v_lshrrev_b32_e32 v15, v8, v13
	v_lshlrev_b32_e32 v10, v10, v14
	s_delay_alu instid0(VALU_DEP_2) | instskip(NEXT) | instid1(VALU_DEP_2)
	v_lshlrev_b32_e32 v8, v8, v15
	v_cmp_ne_u32_e32 vcc_lo, v10, v12
	v_lshl_or_b32 v12, v9, 12, v4
	s_wait_alu 0xfffd
	v_cndmask_b32_e64 v10, 0, 1, vcc_lo
	v_cmp_ne_u32_e32 vcc_lo, v8, v13
	v_lshl_or_b32 v13, v11, 12, v6
	s_delay_alu instid0(VALU_DEP_3) | instskip(SKIP_3) | instid1(VALU_DEP_2)
	v_or_b32_e32 v10, v14, v10
	s_wait_alu 0xfffd
	v_cndmask_b32_e64 v8, 0, 1, vcc_lo
	v_cmp_gt_i32_e32 vcc_lo, 1, v9
	v_or_b32_e32 v8, v15, v8
	s_wait_alu 0xfffd
	v_cndmask_b32_e32 v10, v12, v10, vcc_lo
	v_cmp_gt_i32_e32 vcc_lo, 1, v11
	s_delay_alu instid0(VALU_DEP_2)
	v_and_b32_e32 v12, 7, v10
	s_wait_alu 0xfffd
	v_cndmask_b32_e32 v8, v13, v8, vcc_lo
	v_cmp_ne_u32_e32 vcc_lo, 0, v4
	v_lshrrev_b32_e32 v10, 2, v10
	v_cmp_eq_u32_e64 s0, 3, v12
	s_delay_alu instid0(VALU_DEP_4)
	v_and_b32_e32 v13, 7, v8
	s_wait_alu 0xfffd
	v_cndmask_b32_e64 v4, 0, 1, vcc_lo
	v_cmp_ne_u32_e32 vcc_lo, 0, v6
	v_lshrrev_b32_e32 v8, 2, v8
	v_cmp_lt_i32_e64 s1, 5, v13
	v_cmp_eq_u32_e64 s2, 3, v13
	s_wait_alu 0xfffd
	v_cndmask_b32_e64 v6, 0, 1, vcc_lo
	v_cmp_lt_i32_e32 vcc_lo, 5, v12
	v_lshl_or_b32 v4, v4, 9, 0x7c00
	s_delay_alu instid0(VALU_DEP_3)
	v_lshl_or_b32 v6, v6, 9, 0x7c00
	s_or_b32 vcc_lo, s0, vcc_lo
	s_wait_alu 0xfffe
	v_add_co_ci_u32_e32 v10, vcc_lo, 0, v10, vcc_lo
	s_or_b32 vcc_lo, s2, s1
	s_wait_alu 0xfffe
	v_add_co_ci_u32_e32 v8, vcc_lo, 0, v8, vcc_lo
	v_cmp_gt_i32_e32 vcc_lo, 31, v9
	s_wait_alu 0xfffd
	v_cndmask_b32_e32 v10, 0x7c00, v10, vcc_lo
	v_cmp_gt_i32_e32 vcc_lo, 31, v11
	s_wait_alu 0xfffd
	v_cndmask_b32_e32 v8, 0x7c00, v8, vcc_lo
	v_cmp_eq_u32_e32 vcc_lo, 0x40f, v9
	s_wait_alu 0xfffd
	v_cndmask_b32_e32 v4, v10, v4, vcc_lo
	v_cmp_eq_u32_e32 vcc_lo, 0x40f, v11
	s_delay_alu instid0(VALU_DEP_2)
	v_and_or_b32 v4, 0x8000, v5, v4
	s_wait_alu 0xfffd
	v_cndmask_b32_e32 v6, v8, v6, vcc_lo
	v_add_co_u32 v2, vcc_lo, v2, s6
	s_wait_alu 0xfffd
	v_add_co_ci_u32_e32 v3, vcc_lo, s7, v3, vcc_lo
	s_delay_alu instid0(VALU_DEP_3) | instskip(SKIP_1) | instid1(VALU_DEP_1)
	v_and_or_b32 v5, 0x8000, v7, v6
	v_and_b32_e32 v4, 0xffff, v4
	v_lshl_or_b32 v4, v5, 16, v4
	global_store_b32 v[2:3], v4, off
	global_load_b32 v6, v48, s[12:13] offset:4928
	v_add_nc_u32_e32 v4, 0x1200, v48
	ds_load_2addr_b32 v[4:5], v4 offset0:80 offset1:192
	s_wait_dscnt 0x0
	v_lshrrev_b32_e32 v7, 16, v4
	s_wait_loadcnt 0x0
	v_lshrrev_b32_e32 v8, 16, v6
	s_delay_alu instid0(VALU_DEP_1) | instskip(SKIP_1) | instid1(VALU_DEP_2)
	v_mul_f16_e32 v9, v7, v8
	v_mul_f16_e32 v8, v4, v8
	v_fmac_f16_e32 v9, v4, v6
	s_delay_alu instid0(VALU_DEP_2) | instskip(NEXT) | instid1(VALU_DEP_2)
	v_fma_f16 v4, v6, v7, -v8
	v_cvt_f32_f16_e32 v6, v9
	s_delay_alu instid0(VALU_DEP_2) | instskip(NEXT) | instid1(VALU_DEP_2)
	v_cvt_f32_f16_e32 v4, v4
	v_cvt_f64_f32_e32 v[6:7], v6
	s_delay_alu instid0(VALU_DEP_2) | instskip(NEXT) | instid1(VALU_DEP_2)
	v_cvt_f64_f32_e32 v[8:9], v4
	v_mul_f64_e32 v[6:7], s[8:9], v[6:7]
	s_delay_alu instid0(VALU_DEP_2) | instskip(NEXT) | instid1(VALU_DEP_2)
	v_mul_f64_e32 v[8:9], s[8:9], v[8:9]
	v_and_or_b32 v4, 0x1ff, v7, v6
	s_delay_alu instid0(VALU_DEP_2)
	v_and_or_b32 v8, 0x1ff, v9, v8
	v_lshrrev_b32_e32 v6, 8, v7
	v_bfe_u32 v10, v7, 20, 11
	v_lshrrev_b32_e32 v11, 8, v9
	v_cmp_ne_u32_e32 vcc_lo, 0, v4
	v_bfe_u32 v12, v9, 20, 11
	v_lshrrev_b32_e32 v7, 16, v7
	v_sub_nc_u32_e32 v13, 0x3f1, v10
	v_add_nc_u32_e32 v10, 0xfffffc10, v10
	s_wait_alu 0xfffd
	v_cndmask_b32_e64 v4, 0, 1, vcc_lo
	v_cmp_ne_u32_e32 vcc_lo, 0, v8
	v_lshrrev_b32_e32 v9, 16, v9
	s_delay_alu instid0(VALU_DEP_3) | instskip(SKIP_4) | instid1(VALU_DEP_3)
	v_and_or_b32 v4, 0xffe, v6, v4
	s_wait_alu 0xfffd
	v_cndmask_b32_e64 v8, 0, 1, vcc_lo
	v_sub_nc_u32_e32 v6, 0x3f1, v12
	v_add_nc_u32_e32 v12, 0xfffffc10, v12
	v_and_or_b32 v8, 0xffe, v11, v8
	v_med3_i32 v11, v13, 0, 13
	v_or_b32_e32 v13, 0x1000, v4
	v_med3_i32 v6, v6, 0, 13
	s_delay_alu instid0(VALU_DEP_4) | instskip(NEXT) | instid1(VALU_DEP_3)
	v_or_b32_e32 v14, 0x1000, v8
	v_lshrrev_b32_e32 v15, v11, v13
	s_delay_alu instid0(VALU_DEP_2) | instskip(NEXT) | instid1(VALU_DEP_2)
	v_lshrrev_b32_e32 v16, v6, v14
	v_lshlrev_b32_e32 v11, v11, v15
	s_delay_alu instid0(VALU_DEP_2) | instskip(NEXT) | instid1(VALU_DEP_2)
	v_lshlrev_b32_e32 v6, v6, v16
	v_cmp_ne_u32_e32 vcc_lo, v11, v13
	v_lshl_or_b32 v13, v10, 12, v4
	s_wait_alu 0xfffd
	v_cndmask_b32_e64 v11, 0, 1, vcc_lo
	v_cmp_ne_u32_e32 vcc_lo, v6, v14
	v_lshl_or_b32 v14, v12, 12, v8
	s_delay_alu instid0(VALU_DEP_3) | instskip(SKIP_3) | instid1(VALU_DEP_2)
	v_or_b32_e32 v11, v15, v11
	s_wait_alu 0xfffd
	v_cndmask_b32_e64 v6, 0, 1, vcc_lo
	v_cmp_gt_i32_e32 vcc_lo, 1, v10
	v_or_b32_e32 v6, v16, v6
	s_wait_alu 0xfffd
	v_cndmask_b32_e32 v11, v13, v11, vcc_lo
	v_cmp_gt_i32_e32 vcc_lo, 1, v12
	s_wait_alu 0xfffd
	s_delay_alu instid0(VALU_DEP_2) | instskip(SKIP_2) | instid1(VALU_DEP_3)
	v_dual_cndmask_b32 v6, v14, v6 :: v_dual_and_b32 v13, 7, v11
	v_cmp_ne_u32_e32 vcc_lo, 0, v4
	v_lshrrev_b32_e32 v11, 2, v11
	v_cmp_eq_u32_e64 s0, 3, v13
	s_delay_alu instid0(VALU_DEP_4)
	v_and_b32_e32 v14, 7, v6
	s_wait_alu 0xfffd
	v_cndmask_b32_e64 v4, 0, 1, vcc_lo
	v_cmp_ne_u32_e32 vcc_lo, 0, v8
	v_lshrrev_b32_e32 v6, 2, v6
	v_cmp_lt_i32_e64 s1, 5, v14
	v_cmp_eq_u32_e64 s2, 3, v14
	s_wait_alu 0xfffd
	v_cndmask_b32_e64 v8, 0, 1, vcc_lo
	v_cmp_lt_i32_e32 vcc_lo, 5, v13
	v_lshl_or_b32 v4, v4, 9, 0x7c00
	s_delay_alu instid0(VALU_DEP_3)
	v_lshl_or_b32 v8, v8, 9, 0x7c00
	s_or_b32 vcc_lo, s0, vcc_lo
	s_wait_alu 0xfffe
	v_add_co_ci_u32_e32 v11, vcc_lo, 0, v11, vcc_lo
	s_or_b32 vcc_lo, s2, s1
	s_wait_alu 0xfffe
	v_add_co_ci_u32_e32 v6, vcc_lo, 0, v6, vcc_lo
	v_cmp_gt_i32_e32 vcc_lo, 31, v10
	s_wait_alu 0xfffd
	v_cndmask_b32_e32 v11, 0x7c00, v11, vcc_lo
	v_cmp_gt_i32_e32 vcc_lo, 31, v12
	s_wait_alu 0xfffd
	v_cndmask_b32_e32 v6, 0x7c00, v6, vcc_lo
	v_cmp_eq_u32_e32 vcc_lo, 0x40f, v10
	s_wait_alu 0xfffd
	v_cndmask_b32_e32 v4, v11, v4, vcc_lo
	v_cmp_eq_u32_e32 vcc_lo, 0x40f, v12
	s_delay_alu instid0(VALU_DEP_2)
	v_and_or_b32 v4, 0x8000, v7, v4
	s_wait_alu 0xfffd
	v_cndmask_b32_e32 v6, v6, v8, vcc_lo
	v_add_co_u32 v2, vcc_lo, v2, s6
	s_wait_alu 0xfffd
	v_add_co_ci_u32_e32 v3, vcc_lo, s7, v3, vcc_lo
	s_delay_alu instid0(VALU_DEP_3) | instskip(SKIP_1) | instid1(VALU_DEP_1)
	v_and_or_b32 v6, 0x8000, v9, v6
	v_and_b32_e32 v4, 0xffff, v4
	v_lshl_or_b32 v4, v6, 16, v4
	v_lshrrev_b32_e32 v6, 16, v5
	global_store_b32 v[2:3], v4, off
	global_load_b32 v4, v48, s[12:13] offset:5376
	s_wait_loadcnt 0x0
	v_lshrrev_b32_e32 v7, 16, v4
	s_delay_alu instid0(VALU_DEP_1) | instskip(SKIP_1) | instid1(VALU_DEP_2)
	v_mul_f16_e32 v8, v6, v7
	v_mul_f16_e32 v7, v5, v7
	v_fmac_f16_e32 v8, v5, v4
	s_delay_alu instid0(VALU_DEP_2) | instskip(NEXT) | instid1(VALU_DEP_2)
	v_fma_f16 v4, v4, v6, -v7
	v_cvt_f32_f16_e32 v5, v8
	s_delay_alu instid0(VALU_DEP_2) | instskip(NEXT) | instid1(VALU_DEP_2)
	v_cvt_f32_f16_e32 v6, v4
	v_cvt_f64_f32_e32 v[4:5], v5
	s_delay_alu instid0(VALU_DEP_2) | instskip(NEXT) | instid1(VALU_DEP_2)
	v_cvt_f64_f32_e32 v[6:7], v6
	v_mul_f64_e32 v[4:5], s[8:9], v[4:5]
	s_delay_alu instid0(VALU_DEP_2) | instskip(NEXT) | instid1(VALU_DEP_2)
	v_mul_f64_e32 v[6:7], s[8:9], v[6:7]
	v_and_or_b32 v4, 0x1ff, v5, v4
	s_delay_alu instid0(VALU_DEP_2)
	v_and_or_b32 v6, 0x1ff, v7, v6
	v_lshrrev_b32_e32 v8, 8, v5
	v_bfe_u32 v9, v5, 20, 11
	v_lshrrev_b32_e32 v10, 8, v7
	v_cmp_ne_u32_e32 vcc_lo, 0, v4
	v_bfe_u32 v11, v7, 20, 11
	v_lshrrev_b32_e32 v5, 16, v5
	v_sub_nc_u32_e32 v12, 0x3f1, v9
	v_add_nc_u32_e32 v9, 0xfffffc10, v9
	s_wait_alu 0xfffd
	v_cndmask_b32_e64 v4, 0, 1, vcc_lo
	v_cmp_ne_u32_e32 vcc_lo, 0, v6
	v_lshrrev_b32_e32 v7, 16, v7
	s_delay_alu instid0(VALU_DEP_3) | instskip(SKIP_4) | instid1(VALU_DEP_3)
	v_and_or_b32 v4, 0xffe, v8, v4
	s_wait_alu 0xfffd
	v_cndmask_b32_e64 v6, 0, 1, vcc_lo
	v_sub_nc_u32_e32 v8, 0x3f1, v11
	v_add_nc_u32_e32 v11, 0xfffffc10, v11
	v_and_or_b32 v6, 0xffe, v10, v6
	v_med3_i32 v10, v12, 0, 13
	v_or_b32_e32 v12, 0x1000, v4
	v_med3_i32 v8, v8, 0, 13
	s_delay_alu instid0(VALU_DEP_4) | instskip(NEXT) | instid1(VALU_DEP_3)
	v_or_b32_e32 v13, 0x1000, v6
	v_lshrrev_b32_e32 v14, v10, v12
	s_delay_alu instid0(VALU_DEP_2) | instskip(NEXT) | instid1(VALU_DEP_2)
	v_lshrrev_b32_e32 v15, v8, v13
	v_lshlrev_b32_e32 v10, v10, v14
	s_delay_alu instid0(VALU_DEP_2) | instskip(NEXT) | instid1(VALU_DEP_2)
	v_lshlrev_b32_e32 v8, v8, v15
	v_cmp_ne_u32_e32 vcc_lo, v10, v12
	v_lshl_or_b32 v12, v9, 12, v4
	s_wait_alu 0xfffd
	v_cndmask_b32_e64 v10, 0, 1, vcc_lo
	v_cmp_ne_u32_e32 vcc_lo, v8, v13
	v_lshl_or_b32 v13, v11, 12, v6
	s_delay_alu instid0(VALU_DEP_3) | instskip(SKIP_3) | instid1(VALU_DEP_2)
	v_or_b32_e32 v10, v14, v10
	s_wait_alu 0xfffd
	v_cndmask_b32_e64 v8, 0, 1, vcc_lo
	v_cmp_gt_i32_e32 vcc_lo, 1, v9
	v_or_b32_e32 v8, v15, v8
	s_wait_alu 0xfffd
	v_cndmask_b32_e32 v10, v12, v10, vcc_lo
	v_cmp_gt_i32_e32 vcc_lo, 1, v11
	s_delay_alu instid0(VALU_DEP_2)
	v_and_b32_e32 v12, 7, v10
	s_wait_alu 0xfffd
	v_cndmask_b32_e32 v8, v13, v8, vcc_lo
	v_cmp_ne_u32_e32 vcc_lo, 0, v4
	v_lshrrev_b32_e32 v10, 2, v10
	v_cmp_eq_u32_e64 s0, 3, v12
	s_delay_alu instid0(VALU_DEP_4)
	v_and_b32_e32 v13, 7, v8
	s_wait_alu 0xfffd
	v_cndmask_b32_e64 v4, 0, 1, vcc_lo
	v_cmp_ne_u32_e32 vcc_lo, 0, v6
	v_lshrrev_b32_e32 v8, 2, v8
	v_cmp_lt_i32_e64 s1, 5, v13
	v_cmp_eq_u32_e64 s2, 3, v13
	s_wait_alu 0xfffd
	v_cndmask_b32_e64 v6, 0, 1, vcc_lo
	v_cmp_lt_i32_e32 vcc_lo, 5, v12
	v_lshl_or_b32 v4, v4, 9, 0x7c00
	s_delay_alu instid0(VALU_DEP_3)
	v_lshl_or_b32 v6, v6, 9, 0x7c00
	s_or_b32 vcc_lo, s0, vcc_lo
	s_wait_alu 0xfffe
	v_add_co_ci_u32_e32 v10, vcc_lo, 0, v10, vcc_lo
	s_or_b32 vcc_lo, s2, s1
	s_wait_alu 0xfffe
	v_add_co_ci_u32_e32 v8, vcc_lo, 0, v8, vcc_lo
	v_cmp_gt_i32_e32 vcc_lo, 31, v9
	s_wait_alu 0xfffd
	v_cndmask_b32_e32 v10, 0x7c00, v10, vcc_lo
	v_cmp_gt_i32_e32 vcc_lo, 31, v11
	s_wait_alu 0xfffd
	v_cndmask_b32_e32 v8, 0x7c00, v8, vcc_lo
	v_cmp_eq_u32_e32 vcc_lo, 0x40f, v9
	s_wait_alu 0xfffd
	v_cndmask_b32_e32 v4, v10, v4, vcc_lo
	v_cmp_eq_u32_e32 vcc_lo, 0x40f, v11
	s_delay_alu instid0(VALU_DEP_2)
	v_and_or_b32 v4, 0x8000, v5, v4
	s_wait_alu 0xfffd
	v_cndmask_b32_e32 v6, v8, v6, vcc_lo
	v_add_co_u32 v2, vcc_lo, v2, s6
	s_wait_alu 0xfffd
	v_add_co_ci_u32_e32 v3, vcc_lo, s7, v3, vcc_lo
	s_delay_alu instid0(VALU_DEP_3) | instskip(SKIP_1) | instid1(VALU_DEP_1)
	v_and_or_b32 v5, 0x8000, v7, v6
	v_and_b32_e32 v4, 0xffff, v4
	v_lshl_or_b32 v4, v5, 16, v4
	global_store_b32 v[2:3], v4, off
	global_load_b32 v6, v48, s[12:13] offset:5824
	v_add_nc_u32_e32 v4, 0x1600, v48
	ds_load_2addr_b32 v[4:5], v4 offset0:48 offset1:160
	s_wait_dscnt 0x0
	v_lshrrev_b32_e32 v7, 16, v4
	s_wait_loadcnt 0x0
	v_lshrrev_b32_e32 v8, 16, v6
	s_delay_alu instid0(VALU_DEP_1) | instskip(SKIP_1) | instid1(VALU_DEP_2)
	v_mul_f16_e32 v9, v7, v8
	v_mul_f16_e32 v8, v4, v8
	v_fmac_f16_e32 v9, v4, v6
	s_delay_alu instid0(VALU_DEP_2) | instskip(NEXT) | instid1(VALU_DEP_2)
	v_fma_f16 v4, v6, v7, -v8
	v_cvt_f32_f16_e32 v6, v9
	s_delay_alu instid0(VALU_DEP_2) | instskip(NEXT) | instid1(VALU_DEP_2)
	v_cvt_f32_f16_e32 v4, v4
	v_cvt_f64_f32_e32 v[6:7], v6
	s_delay_alu instid0(VALU_DEP_2) | instskip(NEXT) | instid1(VALU_DEP_2)
	v_cvt_f64_f32_e32 v[8:9], v4
	v_mul_f64_e32 v[6:7], s[8:9], v[6:7]
	s_delay_alu instid0(VALU_DEP_2) | instskip(NEXT) | instid1(VALU_DEP_2)
	v_mul_f64_e32 v[8:9], s[8:9], v[8:9]
	v_and_or_b32 v4, 0x1ff, v7, v6
	s_delay_alu instid0(VALU_DEP_2)
	v_and_or_b32 v8, 0x1ff, v9, v8
	v_lshrrev_b32_e32 v6, 8, v7
	v_bfe_u32 v10, v7, 20, 11
	v_lshrrev_b32_e32 v11, 8, v9
	v_cmp_ne_u32_e32 vcc_lo, 0, v4
	v_bfe_u32 v12, v9, 20, 11
	v_lshrrev_b32_e32 v7, 16, v7
	v_sub_nc_u32_e32 v13, 0x3f1, v10
	v_add_nc_u32_e32 v10, 0xfffffc10, v10
	s_wait_alu 0xfffd
	v_cndmask_b32_e64 v4, 0, 1, vcc_lo
	v_cmp_ne_u32_e32 vcc_lo, 0, v8
	v_lshrrev_b32_e32 v9, 16, v9
	s_delay_alu instid0(VALU_DEP_3) | instskip(SKIP_4) | instid1(VALU_DEP_3)
	v_and_or_b32 v4, 0xffe, v6, v4
	s_wait_alu 0xfffd
	v_cndmask_b32_e64 v8, 0, 1, vcc_lo
	v_sub_nc_u32_e32 v6, 0x3f1, v12
	v_add_nc_u32_e32 v12, 0xfffffc10, v12
	v_and_or_b32 v8, 0xffe, v11, v8
	v_med3_i32 v11, v13, 0, 13
	v_or_b32_e32 v13, 0x1000, v4
	v_med3_i32 v6, v6, 0, 13
	s_delay_alu instid0(VALU_DEP_4) | instskip(NEXT) | instid1(VALU_DEP_3)
	v_or_b32_e32 v14, 0x1000, v8
	v_lshrrev_b32_e32 v15, v11, v13
	s_delay_alu instid0(VALU_DEP_2) | instskip(NEXT) | instid1(VALU_DEP_2)
	v_lshrrev_b32_e32 v16, v6, v14
	v_lshlrev_b32_e32 v11, v11, v15
	s_delay_alu instid0(VALU_DEP_2) | instskip(NEXT) | instid1(VALU_DEP_2)
	v_lshlrev_b32_e32 v6, v6, v16
	v_cmp_ne_u32_e32 vcc_lo, v11, v13
	v_lshl_or_b32 v13, v10, 12, v4
	s_wait_alu 0xfffd
	v_cndmask_b32_e64 v11, 0, 1, vcc_lo
	v_cmp_ne_u32_e32 vcc_lo, v6, v14
	v_lshl_or_b32 v14, v12, 12, v8
	s_delay_alu instid0(VALU_DEP_3) | instskip(SKIP_3) | instid1(VALU_DEP_2)
	v_or_b32_e32 v11, v15, v11
	s_wait_alu 0xfffd
	v_cndmask_b32_e64 v6, 0, 1, vcc_lo
	v_cmp_gt_i32_e32 vcc_lo, 1, v10
	v_or_b32_e32 v6, v16, v6
	s_wait_alu 0xfffd
	v_cndmask_b32_e32 v11, v13, v11, vcc_lo
	v_cmp_gt_i32_e32 vcc_lo, 1, v12
	s_wait_alu 0xfffd
	s_delay_alu instid0(VALU_DEP_2) | instskip(SKIP_2) | instid1(VALU_DEP_3)
	v_dual_cndmask_b32 v6, v14, v6 :: v_dual_and_b32 v13, 7, v11
	v_cmp_ne_u32_e32 vcc_lo, 0, v4
	v_lshrrev_b32_e32 v11, 2, v11
	v_cmp_eq_u32_e64 s0, 3, v13
	s_delay_alu instid0(VALU_DEP_4)
	v_and_b32_e32 v14, 7, v6
	s_wait_alu 0xfffd
	v_cndmask_b32_e64 v4, 0, 1, vcc_lo
	v_cmp_ne_u32_e32 vcc_lo, 0, v8
	v_lshrrev_b32_e32 v6, 2, v6
	v_cmp_lt_i32_e64 s1, 5, v14
	v_cmp_eq_u32_e64 s2, 3, v14
	s_wait_alu 0xfffd
	v_cndmask_b32_e64 v8, 0, 1, vcc_lo
	v_cmp_lt_i32_e32 vcc_lo, 5, v13
	v_lshl_or_b32 v4, v4, 9, 0x7c00
	s_delay_alu instid0(VALU_DEP_3)
	v_lshl_or_b32 v8, v8, 9, 0x7c00
	s_or_b32 vcc_lo, s0, vcc_lo
	s_wait_alu 0xfffe
	v_add_co_ci_u32_e32 v11, vcc_lo, 0, v11, vcc_lo
	s_or_b32 vcc_lo, s2, s1
	s_wait_alu 0xfffe
	v_add_co_ci_u32_e32 v6, vcc_lo, 0, v6, vcc_lo
	v_cmp_gt_i32_e32 vcc_lo, 31, v10
	s_wait_alu 0xfffd
	v_cndmask_b32_e32 v11, 0x7c00, v11, vcc_lo
	v_cmp_gt_i32_e32 vcc_lo, 31, v12
	s_wait_alu 0xfffd
	v_cndmask_b32_e32 v6, 0x7c00, v6, vcc_lo
	v_cmp_eq_u32_e32 vcc_lo, 0x40f, v10
	s_wait_alu 0xfffd
	v_cndmask_b32_e32 v4, v11, v4, vcc_lo
	v_cmp_eq_u32_e32 vcc_lo, 0x40f, v12
	s_delay_alu instid0(VALU_DEP_2)
	v_and_or_b32 v4, 0x8000, v7, v4
	s_wait_alu 0xfffd
	v_cndmask_b32_e32 v6, v6, v8, vcc_lo
	v_add_co_u32 v2, vcc_lo, v2, s6
	s_wait_alu 0xfffd
	v_add_co_ci_u32_e32 v3, vcc_lo, s7, v3, vcc_lo
	s_delay_alu instid0(VALU_DEP_3) | instskip(SKIP_1) | instid1(VALU_DEP_1)
	v_and_or_b32 v6, 0x8000, v9, v6
	v_and_b32_e32 v4, 0xffff, v4
	v_lshl_or_b32 v4, v6, 16, v4
	v_lshrrev_b32_e32 v6, 16, v5
	global_store_b32 v[2:3], v4, off
	global_load_b32 v4, v48, s[12:13] offset:6272
	s_wait_loadcnt 0x0
	v_lshrrev_b32_e32 v7, 16, v4
	s_delay_alu instid0(VALU_DEP_1) | instskip(SKIP_1) | instid1(VALU_DEP_2)
	v_mul_f16_e32 v8, v6, v7
	v_mul_f16_e32 v7, v5, v7
	v_fmac_f16_e32 v8, v5, v4
	s_delay_alu instid0(VALU_DEP_2) | instskip(NEXT) | instid1(VALU_DEP_2)
	v_fma_f16 v4, v4, v6, -v7
	v_cvt_f32_f16_e32 v5, v8
	s_delay_alu instid0(VALU_DEP_2) | instskip(NEXT) | instid1(VALU_DEP_2)
	v_cvt_f32_f16_e32 v6, v4
	v_cvt_f64_f32_e32 v[4:5], v5
	s_delay_alu instid0(VALU_DEP_2) | instskip(NEXT) | instid1(VALU_DEP_2)
	v_cvt_f64_f32_e32 v[6:7], v6
	v_mul_f64_e32 v[4:5], s[8:9], v[4:5]
	s_delay_alu instid0(VALU_DEP_2) | instskip(NEXT) | instid1(VALU_DEP_2)
	v_mul_f64_e32 v[6:7], s[8:9], v[6:7]
	v_and_or_b32 v4, 0x1ff, v5, v4
	s_delay_alu instid0(VALU_DEP_2)
	v_and_or_b32 v6, 0x1ff, v7, v6
	v_lshrrev_b32_e32 v8, 8, v5
	v_bfe_u32 v9, v5, 20, 11
	v_lshrrev_b32_e32 v10, 8, v7
	v_cmp_ne_u32_e32 vcc_lo, 0, v4
	v_bfe_u32 v11, v7, 20, 11
	v_lshrrev_b32_e32 v5, 16, v5
	v_sub_nc_u32_e32 v12, 0x3f1, v9
	v_add_nc_u32_e32 v9, 0xfffffc10, v9
	s_wait_alu 0xfffd
	v_cndmask_b32_e64 v4, 0, 1, vcc_lo
	v_cmp_ne_u32_e32 vcc_lo, 0, v6
	v_lshrrev_b32_e32 v7, 16, v7
	s_delay_alu instid0(VALU_DEP_3) | instskip(SKIP_4) | instid1(VALU_DEP_3)
	v_and_or_b32 v4, 0xffe, v8, v4
	s_wait_alu 0xfffd
	v_cndmask_b32_e64 v6, 0, 1, vcc_lo
	v_sub_nc_u32_e32 v8, 0x3f1, v11
	v_add_nc_u32_e32 v11, 0xfffffc10, v11
	v_and_or_b32 v6, 0xffe, v10, v6
	v_med3_i32 v10, v12, 0, 13
	v_or_b32_e32 v12, 0x1000, v4
	v_med3_i32 v8, v8, 0, 13
	s_delay_alu instid0(VALU_DEP_4) | instskip(NEXT) | instid1(VALU_DEP_3)
	v_or_b32_e32 v13, 0x1000, v6
	v_lshrrev_b32_e32 v14, v10, v12
	s_delay_alu instid0(VALU_DEP_2) | instskip(NEXT) | instid1(VALU_DEP_2)
	v_lshrrev_b32_e32 v15, v8, v13
	v_lshlrev_b32_e32 v10, v10, v14
	s_delay_alu instid0(VALU_DEP_2) | instskip(NEXT) | instid1(VALU_DEP_2)
	v_lshlrev_b32_e32 v8, v8, v15
	v_cmp_ne_u32_e32 vcc_lo, v10, v12
	v_lshl_or_b32 v12, v9, 12, v4
	s_wait_alu 0xfffd
	v_cndmask_b32_e64 v10, 0, 1, vcc_lo
	v_cmp_ne_u32_e32 vcc_lo, v8, v13
	v_lshl_or_b32 v13, v11, 12, v6
	s_delay_alu instid0(VALU_DEP_3) | instskip(SKIP_3) | instid1(VALU_DEP_2)
	v_or_b32_e32 v10, v14, v10
	s_wait_alu 0xfffd
	v_cndmask_b32_e64 v8, 0, 1, vcc_lo
	v_cmp_gt_i32_e32 vcc_lo, 1, v9
	v_or_b32_e32 v8, v15, v8
	s_wait_alu 0xfffd
	v_cndmask_b32_e32 v10, v12, v10, vcc_lo
	v_cmp_gt_i32_e32 vcc_lo, 1, v11
	s_delay_alu instid0(VALU_DEP_2)
	v_and_b32_e32 v12, 7, v10
	s_wait_alu 0xfffd
	v_cndmask_b32_e32 v8, v13, v8, vcc_lo
	v_cmp_ne_u32_e32 vcc_lo, 0, v4
	v_lshrrev_b32_e32 v10, 2, v10
	v_cmp_eq_u32_e64 s0, 3, v12
	s_delay_alu instid0(VALU_DEP_4)
	v_and_b32_e32 v13, 7, v8
	s_wait_alu 0xfffd
	v_cndmask_b32_e64 v4, 0, 1, vcc_lo
	v_cmp_ne_u32_e32 vcc_lo, 0, v6
	v_lshrrev_b32_e32 v8, 2, v8
	v_cmp_lt_i32_e64 s1, 5, v13
	v_cmp_eq_u32_e64 s2, 3, v13
	s_wait_alu 0xfffd
	v_cndmask_b32_e64 v6, 0, 1, vcc_lo
	v_cmp_lt_i32_e32 vcc_lo, 5, v12
	v_lshl_or_b32 v4, v4, 9, 0x7c00
	s_delay_alu instid0(VALU_DEP_3)
	v_lshl_or_b32 v6, v6, 9, 0x7c00
	s_or_b32 vcc_lo, s0, vcc_lo
	s_wait_alu 0xfffe
	v_add_co_ci_u32_e32 v10, vcc_lo, 0, v10, vcc_lo
	s_or_b32 vcc_lo, s2, s1
	s_wait_alu 0xfffe
	v_add_co_ci_u32_e32 v8, vcc_lo, 0, v8, vcc_lo
	v_cmp_gt_i32_e32 vcc_lo, 31, v9
	s_wait_alu 0xfffd
	v_cndmask_b32_e32 v10, 0x7c00, v10, vcc_lo
	v_cmp_gt_i32_e32 vcc_lo, 31, v11
	s_wait_alu 0xfffd
	v_cndmask_b32_e32 v8, 0x7c00, v8, vcc_lo
	v_cmp_eq_u32_e32 vcc_lo, 0x40f, v9
	s_wait_alu 0xfffd
	v_cndmask_b32_e32 v4, v10, v4, vcc_lo
	v_cmp_eq_u32_e32 vcc_lo, 0x40f, v11
	s_delay_alu instid0(VALU_DEP_2)
	v_and_or_b32 v4, 0x8000, v5, v4
	s_wait_alu 0xfffd
	v_cndmask_b32_e32 v6, v8, v6, vcc_lo
	v_add_co_u32 v2, vcc_lo, v2, s6
	s_wait_alu 0xfffd
	v_add_co_ci_u32_e32 v3, vcc_lo, s7, v3, vcc_lo
	s_delay_alu instid0(VALU_DEP_3) | instskip(SKIP_1) | instid1(VALU_DEP_1)
	v_and_or_b32 v5, 0x8000, v7, v6
	v_and_b32_e32 v4, 0xffff, v4
	v_lshl_or_b32 v4, v5, 16, v4
	global_store_b32 v[2:3], v4, off
	global_load_b32 v6, v48, s[12:13] offset:6720
	v_add_nc_u32_e32 v4, 0x1a00, v48
	ds_load_2addr_b32 v[4:5], v4 offset0:16 offset1:128
	s_wait_dscnt 0x0
	v_lshrrev_b32_e32 v7, 16, v4
	s_wait_loadcnt 0x0
	v_lshrrev_b32_e32 v8, 16, v6
	s_delay_alu instid0(VALU_DEP_1) | instskip(SKIP_1) | instid1(VALU_DEP_2)
	v_mul_f16_e32 v9, v7, v8
	v_mul_f16_e32 v8, v4, v8
	v_fmac_f16_e32 v9, v4, v6
	s_delay_alu instid0(VALU_DEP_2) | instskip(NEXT) | instid1(VALU_DEP_2)
	v_fma_f16 v4, v6, v7, -v8
	v_cvt_f32_f16_e32 v6, v9
	s_delay_alu instid0(VALU_DEP_2) | instskip(NEXT) | instid1(VALU_DEP_2)
	v_cvt_f32_f16_e32 v4, v4
	v_cvt_f64_f32_e32 v[6:7], v6
	s_delay_alu instid0(VALU_DEP_2) | instskip(NEXT) | instid1(VALU_DEP_2)
	v_cvt_f64_f32_e32 v[8:9], v4
	v_mul_f64_e32 v[6:7], s[8:9], v[6:7]
	s_delay_alu instid0(VALU_DEP_2) | instskip(NEXT) | instid1(VALU_DEP_2)
	v_mul_f64_e32 v[8:9], s[8:9], v[8:9]
	v_and_or_b32 v4, 0x1ff, v7, v6
	s_delay_alu instid0(VALU_DEP_2)
	v_and_or_b32 v8, 0x1ff, v9, v8
	v_lshrrev_b32_e32 v6, 8, v7
	v_bfe_u32 v10, v7, 20, 11
	v_lshrrev_b32_e32 v11, 8, v9
	v_cmp_ne_u32_e32 vcc_lo, 0, v4
	v_bfe_u32 v12, v9, 20, 11
	v_lshrrev_b32_e32 v7, 16, v7
	v_sub_nc_u32_e32 v13, 0x3f1, v10
	v_add_nc_u32_e32 v10, 0xfffffc10, v10
	s_wait_alu 0xfffd
	v_cndmask_b32_e64 v4, 0, 1, vcc_lo
	v_cmp_ne_u32_e32 vcc_lo, 0, v8
	v_lshrrev_b32_e32 v9, 16, v9
	s_delay_alu instid0(VALU_DEP_3) | instskip(SKIP_4) | instid1(VALU_DEP_3)
	v_and_or_b32 v4, 0xffe, v6, v4
	s_wait_alu 0xfffd
	v_cndmask_b32_e64 v8, 0, 1, vcc_lo
	v_sub_nc_u32_e32 v6, 0x3f1, v12
	v_add_nc_u32_e32 v12, 0xfffffc10, v12
	v_and_or_b32 v8, 0xffe, v11, v8
	v_med3_i32 v11, v13, 0, 13
	v_or_b32_e32 v13, 0x1000, v4
	v_med3_i32 v6, v6, 0, 13
	s_delay_alu instid0(VALU_DEP_4) | instskip(NEXT) | instid1(VALU_DEP_3)
	v_or_b32_e32 v14, 0x1000, v8
	v_lshrrev_b32_e32 v15, v11, v13
	s_delay_alu instid0(VALU_DEP_2) | instskip(NEXT) | instid1(VALU_DEP_2)
	v_lshrrev_b32_e32 v16, v6, v14
	v_lshlrev_b32_e32 v11, v11, v15
	s_delay_alu instid0(VALU_DEP_2) | instskip(NEXT) | instid1(VALU_DEP_2)
	v_lshlrev_b32_e32 v6, v6, v16
	v_cmp_ne_u32_e32 vcc_lo, v11, v13
	v_lshl_or_b32 v13, v10, 12, v4
	s_wait_alu 0xfffd
	v_cndmask_b32_e64 v11, 0, 1, vcc_lo
	v_cmp_ne_u32_e32 vcc_lo, v6, v14
	v_lshl_or_b32 v14, v12, 12, v8
	s_delay_alu instid0(VALU_DEP_3) | instskip(SKIP_3) | instid1(VALU_DEP_2)
	v_or_b32_e32 v11, v15, v11
	s_wait_alu 0xfffd
	v_cndmask_b32_e64 v6, 0, 1, vcc_lo
	v_cmp_gt_i32_e32 vcc_lo, 1, v10
	v_or_b32_e32 v6, v16, v6
	s_wait_alu 0xfffd
	v_cndmask_b32_e32 v11, v13, v11, vcc_lo
	v_cmp_gt_i32_e32 vcc_lo, 1, v12
	s_wait_alu 0xfffd
	s_delay_alu instid0(VALU_DEP_2) | instskip(SKIP_2) | instid1(VALU_DEP_3)
	v_dual_cndmask_b32 v6, v14, v6 :: v_dual_and_b32 v13, 7, v11
	v_cmp_ne_u32_e32 vcc_lo, 0, v4
	v_lshrrev_b32_e32 v11, 2, v11
	v_cmp_eq_u32_e64 s0, 3, v13
	s_delay_alu instid0(VALU_DEP_4)
	v_and_b32_e32 v14, 7, v6
	s_wait_alu 0xfffd
	v_cndmask_b32_e64 v4, 0, 1, vcc_lo
	v_cmp_ne_u32_e32 vcc_lo, 0, v8
	v_lshrrev_b32_e32 v6, 2, v6
	v_cmp_lt_i32_e64 s1, 5, v14
	v_cmp_eq_u32_e64 s2, 3, v14
	s_wait_alu 0xfffd
	v_cndmask_b32_e64 v8, 0, 1, vcc_lo
	v_cmp_lt_i32_e32 vcc_lo, 5, v13
	v_lshl_or_b32 v4, v4, 9, 0x7c00
	s_delay_alu instid0(VALU_DEP_3)
	v_lshl_or_b32 v8, v8, 9, 0x7c00
	s_or_b32 vcc_lo, s0, vcc_lo
	s_wait_alu 0xfffe
	v_add_co_ci_u32_e32 v11, vcc_lo, 0, v11, vcc_lo
	s_or_b32 vcc_lo, s2, s1
	s_wait_alu 0xfffe
	v_add_co_ci_u32_e32 v6, vcc_lo, 0, v6, vcc_lo
	v_cmp_gt_i32_e32 vcc_lo, 31, v10
	s_wait_alu 0xfffd
	v_cndmask_b32_e32 v11, 0x7c00, v11, vcc_lo
	v_cmp_gt_i32_e32 vcc_lo, 31, v12
	s_wait_alu 0xfffd
	v_cndmask_b32_e32 v6, 0x7c00, v6, vcc_lo
	v_cmp_eq_u32_e32 vcc_lo, 0x40f, v10
	s_wait_alu 0xfffd
	v_cndmask_b32_e32 v4, v11, v4, vcc_lo
	v_cmp_eq_u32_e32 vcc_lo, 0x40f, v12
	s_delay_alu instid0(VALU_DEP_2)
	v_and_or_b32 v4, 0x8000, v7, v4
	s_wait_alu 0xfffd
	v_cndmask_b32_e32 v6, v6, v8, vcc_lo
	v_add_co_u32 v2, vcc_lo, v2, s6
	s_wait_alu 0xfffd
	v_add_co_ci_u32_e32 v3, vcc_lo, s7, v3, vcc_lo
	s_delay_alu instid0(VALU_DEP_3) | instskip(SKIP_1) | instid1(VALU_DEP_1)
	v_and_or_b32 v6, 0x8000, v9, v6
	v_and_b32_e32 v4, 0xffff, v4
	v_lshl_or_b32 v4, v6, 16, v4
	global_store_b32 v[2:3], v4, off
	global_load_b32 v2, v48, s[12:13] offset:7168
	v_lshrrev_b32_e32 v3, 16, v5
	s_wait_loadcnt 0x0
	v_lshrrev_b32_e32 v4, 16, v2
	s_delay_alu instid0(VALU_DEP_1) | instskip(SKIP_1) | instid1(VALU_DEP_2)
	v_mul_f16_e32 v6, v3, v4
	v_mul_f16_e32 v4, v5, v4
	v_fmac_f16_e32 v6, v5, v2
	s_delay_alu instid0(VALU_DEP_2) | instskip(NEXT) | instid1(VALU_DEP_2)
	v_fma_f16 v2, v2, v3, -v4
	v_cvt_f32_f16_e32 v3, v6
	s_delay_alu instid0(VALU_DEP_2) | instskip(NEXT) | instid1(VALU_DEP_2)
	v_cvt_f32_f16_e32 v4, v2
	v_cvt_f64_f32_e32 v[2:3], v3
	s_delay_alu instid0(VALU_DEP_2) | instskip(NEXT) | instid1(VALU_DEP_2)
	v_cvt_f64_f32_e32 v[4:5], v4
	v_mul_f64_e32 v[2:3], s[8:9], v[2:3]
	s_delay_alu instid0(VALU_DEP_2) | instskip(NEXT) | instid1(VALU_DEP_2)
	v_mul_f64_e32 v[4:5], s[8:9], v[4:5]
	v_and_or_b32 v2, 0x1ff, v3, v2
	s_delay_alu instid0(VALU_DEP_2)
	v_and_or_b32 v4, 0x1ff, v5, v4
	v_lshrrev_b32_e32 v6, 8, v3
	v_bfe_u32 v8, v3, 20, 11
	v_bfe_u32 v9, v5, 20, 11
	v_cmp_ne_u32_e32 vcc_lo, 0, v2
	v_lshrrev_b32_e32 v7, 8, v5
	v_lshrrev_b32_e32 v5, 16, v5
	v_sub_nc_u32_e32 v10, 0x3f1, v8
	v_sub_nc_u32_e32 v11, 0x3f1, v9
	s_wait_alu 0xfffd
	v_cndmask_b32_e64 v2, 0, 1, vcc_lo
	v_cmp_ne_u32_e32 vcc_lo, 0, v4
	v_add_nc_u32_e32 v9, 0xfffffc10, v9
	s_delay_alu instid0(VALU_DEP_3)
	v_and_or_b32 v12, 0xffe, v6, v2
	s_wait_alu 0xfffd
	v_cndmask_b32_e64 v4, 0, 1, vcc_lo
	v_med3_i32 v2, v10, 0, 13
	v_med3_i32 v10, v11, 0, 13
	v_or_b32_e32 v11, 0x1000, v12
	s_delay_alu instid0(VALU_DEP_4) | instskip(SKIP_1) | instid1(VALU_DEP_3)
	v_and_or_b32 v4, 0xffe, v7, v4
	v_mad_co_u64_u32 v[6:7], null, s4, v247, 0
	v_lshrrev_b32_e32 v14, v2, v11
	s_delay_alu instid0(VALU_DEP_3) | instskip(NEXT) | instid1(VALU_DEP_2)
	v_or_b32_e32 v13, 0x1000, v4
	v_lshlrev_b32_e32 v16, v2, v14
	s_delay_alu instid0(VALU_DEP_2) | instskip(SKIP_1) | instid1(VALU_DEP_3)
	v_lshrrev_b32_e32 v15, v10, v13
	v_mov_b32_e32 v2, v7
	v_cmp_ne_u32_e32 vcc_lo, v16, v11
	s_delay_alu instid0(VALU_DEP_3) | instskip(SKIP_3) | instid1(VALU_DEP_3)
	v_lshlrev_b32_e32 v7, v10, v15
	v_add_nc_u32_e32 v10, 0xfffffc10, v8
	s_wait_alu 0xfffd
	v_cndmask_b32_e64 v11, 0, 1, vcc_lo
	v_cmp_ne_u32_e32 vcc_lo, v7, v13
	v_mad_co_u64_u32 v[7:8], null, s5, v247, v[2:3]
	v_lshl_or_b32 v2, v10, 12, v12
	s_delay_alu instid0(VALU_DEP_4)
	v_or_b32_e32 v8, v14, v11
	s_wait_alu 0xfffd
	v_cndmask_b32_e64 v13, 0, 1, vcc_lo
	v_cmp_gt_i32_e32 vcc_lo, 1, v10
	v_lshl_or_b32 v11, v9, 12, v4
	v_lshrrev_b32_e32 v3, 16, v3
	s_delay_alu instid0(VALU_DEP_4)
	v_or_b32_e32 v13, v15, v13
	s_wait_alu 0xfffd
	v_cndmask_b32_e32 v2, v2, v8, vcc_lo
	v_cmp_gt_i32_e32 vcc_lo, 1, v9
	s_wait_alu 0xfffd
	v_cndmask_b32_e32 v8, v11, v13, vcc_lo
	v_cmp_ne_u32_e32 vcc_lo, 0, v12
	v_and_b32_e32 v12, 7, v2
	v_lshrrev_b32_e32 v2, 2, v2
	s_delay_alu instid0(VALU_DEP_4)
	v_and_b32_e32 v13, 7, v8
	s_wait_alu 0xfffd
	v_cndmask_b32_e64 v11, 0, 1, vcc_lo
	v_cmp_ne_u32_e32 vcc_lo, 0, v4
	v_cmp_eq_u32_e64 s0, 3, v12
	v_lshrrev_b32_e32 v8, 2, v8
	v_cmp_lt_i32_e64 s1, 5, v13
	v_cmp_eq_u32_e64 s2, 3, v13
	s_wait_alu 0xfffd
	v_cndmask_b32_e64 v4, 0, 1, vcc_lo
	v_cmp_lt_i32_e32 vcc_lo, 5, v12
	v_lshl_or_b32 v11, v11, 9, 0x7c00
	s_delay_alu instid0(VALU_DEP_3)
	v_lshl_or_b32 v4, v4, 9, 0x7c00
	s_or_b32 vcc_lo, s0, vcc_lo
	s_wait_alu 0xfffe
	v_add_co_ci_u32_e32 v2, vcc_lo, 0, v2, vcc_lo
	s_or_b32 vcc_lo, s2, s1
	s_wait_alu 0xfffe
	v_add_co_ci_u32_e32 v8, vcc_lo, 0, v8, vcc_lo
	v_cmp_gt_i32_e32 vcc_lo, 31, v10
	s_wait_alu 0xfffd
	v_cndmask_b32_e32 v2, 0x7c00, v2, vcc_lo
	v_cmp_gt_i32_e32 vcc_lo, 31, v9
	s_wait_alu 0xfffd
	v_cndmask_b32_e32 v8, 0x7c00, v8, vcc_lo
	v_cmp_eq_u32_e32 vcc_lo, 0x40f, v10
	s_wait_alu 0xfffd
	v_cndmask_b32_e32 v2, v2, v11, vcc_lo
	v_cmp_eq_u32_e32 vcc_lo, 0x40f, v9
	s_delay_alu instid0(VALU_DEP_2) | instskip(SKIP_2) | instid1(VALU_DEP_1)
	v_and_or_b32 v2, 0x8000, v3, v2
	s_wait_alu 0xfffd
	v_cndmask_b32_e32 v4, v8, v4, vcc_lo
	v_and_or_b32 v4, 0x8000, v5, v4
	s_delay_alu instid0(VALU_DEP_3) | instskip(SKIP_1) | instid1(VALU_DEP_2)
	v_and_b32_e32 v5, 0xffff, v2
	v_lshlrev_b64_e32 v[2:3], 2, v[6:7]
	v_lshl_or_b32 v4, v4, 16, v5
	s_delay_alu instid0(VALU_DEP_2) | instskip(SKIP_1) | instid1(VALU_DEP_3)
	v_add_co_u32 v0, vcc_lo, v0, v2
	s_wait_alu 0xfffd
	v_add_co_ci_u32_e32 v1, vcc_lo, v1, v3, vcc_lo
	global_store_b32 v[0:1], v4, off
.LBB0_23:
	s_nop 0
	s_sendmsg sendmsg(MSG_DEALLOC_VGPRS)
	s_endpgm
	.section	.rodata,"a",@progbits
	.p2align	6, 0x0
	.amdhsa_kernel bluestein_single_fwd_len1904_dim1_half_op_CI_CI
		.amdhsa_group_segment_fixed_size 7616
		.amdhsa_private_segment_fixed_size 180
		.amdhsa_kernarg_size 104
		.amdhsa_user_sgpr_count 2
		.amdhsa_user_sgpr_dispatch_ptr 0
		.amdhsa_user_sgpr_queue_ptr 0
		.amdhsa_user_sgpr_kernarg_segment_ptr 1
		.amdhsa_user_sgpr_dispatch_id 0
		.amdhsa_user_sgpr_private_segment_size 0
		.amdhsa_wavefront_size32 1
		.amdhsa_uses_dynamic_stack 0
		.amdhsa_enable_private_segment 1
		.amdhsa_system_sgpr_workgroup_id_x 1
		.amdhsa_system_sgpr_workgroup_id_y 0
		.amdhsa_system_sgpr_workgroup_id_z 0
		.amdhsa_system_sgpr_workgroup_info 0
		.amdhsa_system_vgpr_workitem_id 0
		.amdhsa_next_free_vgpr 256
		.amdhsa_next_free_sgpr 16
		.amdhsa_reserve_vcc 1
		.amdhsa_float_round_mode_32 0
		.amdhsa_float_round_mode_16_64 0
		.amdhsa_float_denorm_mode_32 3
		.amdhsa_float_denorm_mode_16_64 3
		.amdhsa_fp16_overflow 0
		.amdhsa_workgroup_processor_mode 1
		.amdhsa_memory_ordered 1
		.amdhsa_forward_progress 0
		.amdhsa_round_robin_scheduling 0
		.amdhsa_exception_fp_ieee_invalid_op 0
		.amdhsa_exception_fp_denorm_src 0
		.amdhsa_exception_fp_ieee_div_zero 0
		.amdhsa_exception_fp_ieee_overflow 0
		.amdhsa_exception_fp_ieee_underflow 0
		.amdhsa_exception_fp_ieee_inexact 0
		.amdhsa_exception_int_div_zero 0
	.end_amdhsa_kernel
	.text
.Lfunc_end0:
	.size	bluestein_single_fwd_len1904_dim1_half_op_CI_CI, .Lfunc_end0-bluestein_single_fwd_len1904_dim1_half_op_CI_CI
                                        ; -- End function
	.section	.AMDGPU.csdata,"",@progbits
; Kernel info:
; codeLenInByte = 42856
; NumSgprs: 18
; NumVgprs: 256
; ScratchSize: 180
; MemoryBound: 0
; FloatMode: 240
; IeeeMode: 1
; LDSByteSize: 7616 bytes/workgroup (compile time only)
; SGPRBlocks: 2
; VGPRBlocks: 31
; NumSGPRsForWavesPerEU: 18
; NumVGPRsForWavesPerEU: 256
; Occupancy: 5
; WaveLimiterHint : 1
; COMPUTE_PGM_RSRC2:SCRATCH_EN: 1
; COMPUTE_PGM_RSRC2:USER_SGPR: 2
; COMPUTE_PGM_RSRC2:TRAP_HANDLER: 0
; COMPUTE_PGM_RSRC2:TGID_X_EN: 1
; COMPUTE_PGM_RSRC2:TGID_Y_EN: 0
; COMPUTE_PGM_RSRC2:TGID_Z_EN: 0
; COMPUTE_PGM_RSRC2:TIDIG_COMP_CNT: 0
	.text
	.p2alignl 7, 3214868480
	.fill 96, 4, 3214868480
	.type	__hip_cuid_c57a0a7f341d08fa,@object ; @__hip_cuid_c57a0a7f341d08fa
	.section	.bss,"aw",@nobits
	.globl	__hip_cuid_c57a0a7f341d08fa
__hip_cuid_c57a0a7f341d08fa:
	.byte	0                               ; 0x0
	.size	__hip_cuid_c57a0a7f341d08fa, 1

	.ident	"AMD clang version 19.0.0git (https://github.com/RadeonOpenCompute/llvm-project roc-6.4.0 25133 c7fe45cf4b819c5991fe208aaa96edf142730f1d)"
	.section	".note.GNU-stack","",@progbits
	.addrsig
	.addrsig_sym __hip_cuid_c57a0a7f341d08fa
	.amdgpu_metadata
---
amdhsa.kernels:
  - .args:
      - .actual_access:  read_only
        .address_space:  global
        .offset:         0
        .size:           8
        .value_kind:     global_buffer
      - .actual_access:  read_only
        .address_space:  global
        .offset:         8
        .size:           8
        .value_kind:     global_buffer
      - .actual_access:  read_only
        .address_space:  global
        .offset:         16
        .size:           8
        .value_kind:     global_buffer
      - .actual_access:  read_only
        .address_space:  global
        .offset:         24
        .size:           8
        .value_kind:     global_buffer
      - .actual_access:  read_only
        .address_space:  global
        .offset:         32
        .size:           8
        .value_kind:     global_buffer
      - .offset:         40
        .size:           8
        .value_kind:     by_value
      - .address_space:  global
        .offset:         48
        .size:           8
        .value_kind:     global_buffer
      - .address_space:  global
        .offset:         56
        .size:           8
        .value_kind:     global_buffer
      - .address_space:  global
        .offset:         64
        .size:           8
        .value_kind:     global_buffer
      - .address_space:  global
        .offset:         72
        .size:           8
        .value_kind:     global_buffer
      - .offset:         80
        .size:           4
        .value_kind:     by_value
      - .address_space:  global
        .offset:         88
        .size:           8
        .value_kind:     global_buffer
      - .address_space:  global
        .offset:         96
        .size:           8
        .value_kind:     global_buffer
    .group_segment_fixed_size: 7616
    .kernarg_segment_align: 8
    .kernarg_segment_size: 104
    .language:       OpenCL C
    .language_version:
      - 2
      - 0
    .max_flat_workgroup_size: 119
    .name:           bluestein_single_fwd_len1904_dim1_half_op_CI_CI
    .private_segment_fixed_size: 180
    .sgpr_count:     18
    .sgpr_spill_count: 0
    .symbol:         bluestein_single_fwd_len1904_dim1_half_op_CI_CI.kd
    .uniform_work_group_size: 1
    .uses_dynamic_stack: false
    .vgpr_count:     256
    .vgpr_spill_count: 44
    .wavefront_size: 32
    .workgroup_processor_mode: 1
amdhsa.target:   amdgcn-amd-amdhsa--gfx1201
amdhsa.version:
  - 1
  - 2
...

	.end_amdgpu_metadata
